;; amdgpu-corpus repo=ROCm/rocFFT kind=compiled arch=gfx906 opt=O3
	.text
	.amdgcn_target "amdgcn-amd-amdhsa--gfx906"
	.amdhsa_code_object_version 6
	.protected	bluestein_single_fwd_len686_dim1_half_op_CI_CI ; -- Begin function bluestein_single_fwd_len686_dim1_half_op_CI_CI
	.globl	bluestein_single_fwd_len686_dim1_half_op_CI_CI
	.p2align	8
	.type	bluestein_single_fwd_len686_dim1_half_op_CI_CI,@function
bluestein_single_fwd_len686_dim1_half_op_CI_CI: ; @bluestein_single_fwd_len686_dim1_half_op_CI_CI
; %bb.0:
	s_load_dwordx4 s[16:19], s[4:5], 0x28
	v_mul_u32_u24_e32 v1, 0x53a, v0
	v_add_u32_sdwa v12, s6, v1 dst_sel:DWORD dst_unused:UNUSED_PAD src0_sel:DWORD src1_sel:WORD_1
	v_mov_b32_e32 v13, 0
	s_waitcnt lgkmcnt(0)
	v_cmp_gt_u64_e32 vcc, s[16:17], v[12:13]
	s_and_saveexec_b64 s[0:1], vcc
	s_cbranch_execz .LBB0_2
; %bb.1:
	s_load_dwordx4 s[8:11], s[4:5], 0x18
	s_load_dwordx4 s[0:3], s[4:5], 0x0
	v_mov_b32_e32 v2, 49
	v_mul_lo_u16_sdwa v1, v1, v2 dst_sel:DWORD dst_unused:UNUSED_PAD src0_sel:WORD_1 src1_sel:DWORD
	v_sub_u16_e32 v34, v0, v1
	s_waitcnt lgkmcnt(0)
	s_load_dwordx4 s[12:15], s[8:9], 0x0
	v_lshlrev_b32_e32 v32, 2, v34
	global_load_dword v37, v32, s[0:1]
	v_mov_b32_e32 v24, 0xfffff794
	v_add_u32_e32 v30, 0x800, v32
	s_waitcnt lgkmcnt(0)
	v_mad_u64_u32 v[0:1], s[6:7], s14, v12, 0
	v_mad_u64_u32 v[2:3], s[6:7], s12, v34, 0
	s_mul_i32 s8, s13, 0x188
	s_mul_hi_u32 s9, s12, 0x188
	v_mad_u64_u32 v[4:5], s[6:7], s15, v12, v[1:2]
	s_mul_i32 s14, s12, 0x188
	v_add_u32_e32 v33, 0x600, v32
	v_mad_u64_u32 v[5:6], s[6:7], s13, v34, v[3:4]
	v_mov_b32_e32 v1, v4
	v_lshlrev_b64 v[0:1], 2, v[0:1]
	v_mov_b32_e32 v6, s19
	v_mov_b32_e32 v3, v5
	v_add_co_u32_e32 v4, vcc, s18, v0
	v_addc_co_u32_e32 v5, vcc, v6, v1, vcc
	v_lshlrev_b64 v[0:1], 2, v[2:3]
	s_add_u32 s6, s0, 0xab8
	v_add_co_u32_e32 v0, vcc, v4, v0
	v_addc_co_u32_e32 v1, vcc, v5, v1, vcc
	global_load_dword v4, v[0:1], off
	s_addc_u32 s7, s1, 0
	s_add_i32 s15, s9, s8
	v_mov_b32_e32 v2, s15
	v_add_co_u32_e32 v0, vcc, s14, v0
	v_addc_co_u32_e32 v1, vcc, v1, v2, vcc
	global_load_dword v29, v32, s[0:1] offset:1568
	global_load_dword v28, v32, s[0:1] offset:1960
	;; [unrolled: 1-line block ×10, first 2 shown]
	global_load_dword v5, v[0:1], off
	v_add_co_u32_e32 v0, vcc, s14, v0
	v_addc_co_u32_e32 v1, vcc, v1, v2, vcc
	global_load_dword v7, v[0:1], off
	v_mov_b32_e32 v3, s15
	v_add_co_u32_e32 v0, vcc, s14, v0
	v_addc_co_u32_e32 v1, vcc, v1, v3, vcc
	global_load_dword v9, v[0:1], off
	v_mov_b32_e32 v6, s15
	v_add_co_u32_e32 v0, vcc, s14, v0
	v_addc_co_u32_e32 v1, vcc, v1, v6, vcc
	global_load_dword v6, v[0:1], off
	v_add_co_u32_e32 v0, vcc, s14, v0
	v_addc_co_u32_e32 v1, vcc, v1, v2, vcc
	v_mov_b32_e32 v8, s15
	v_add_co_u32_e32 v2, vcc, s14, v0
	v_addc_co_u32_e32 v3, vcc, v1, v8, vcc
	global_load_dword v8, v[0:1], off
	v_mad_u64_u32 v[0:1], s[8:9], s12, v24, v[2:3]
	global_load_dword v13, v[2:3], off
	s_mulk_i32 s13, 0xf794
	s_sub_i32 s13, s13, s12
	v_add_u32_e32 v1, s13, v1
	global_load_dword v14, v[0:1], off
	v_mov_b32_e32 v10, s15
	v_add_co_u32_e32 v0, vcc, s14, v0
	v_addc_co_u32_e32 v1, vcc, v1, v10, vcc
	global_load_dword v10, v[0:1], off
	v_mov_b32_e32 v11, s15
	v_add_co_u32_e32 v0, vcc, s14, v0
	v_addc_co_u32_e32 v1, vcc, v1, v11, vcc
	global_load_dword v11, v[0:1], off
	v_add_co_u32_e32 v0, vcc, s14, v0
	v_add_u32_e32 v36, 0x400, v32
	s_movk_i32 s12, 0x39e0
	s_movk_i32 s19, 0x3a52
	;; [unrolled: 1-line block ×6, first 2 shown]
	s_mov_b32 s18, 0xffff
	s_mov_b32 s17, 0xb574
	;; [unrolled: 1-line block ×3, first 2 shown]
	s_load_dwordx2 s[4:5], s[4:5], 0x38
	s_waitcnt vmcnt(19)
	v_lshrrev_b32_e32 v2, 16, v4
	v_mul_f16_sdwa v3, v37, v4 dst_sel:DWORD dst_unused:UNUSED_PAD src0_sel:WORD_1 src1_sel:DWORD
	v_mul_f16_sdwa v15, v37, v2 dst_sel:DWORD dst_unused:UNUSED_PAD src0_sel:WORD_1 src1_sel:DWORD
	v_fma_f16 v16, v37, v2, -v3
	v_mov_b32_e32 v2, s15
	v_addc_co_u32_e32 v1, vcc, v1, v2, vcc
	v_fma_f16 v4, v37, v4, v15
	global_load_dword v15, v[0:1], off
	v_add_co_u32_e32 v0, vcc, s14, v0
	v_addc_co_u32_e32 v1, vcc, v1, v2, vcc
	global_load_dword v17, v[0:1], off
	global_load_dword v19, v32, s[0:1] offset:2548
	global_load_dword v20, v32, s[0:1] offset:2156
	global_load_dword v22, v32, s[0:1] offset:1764
	v_add_co_u32_e32 v0, vcc, s14, v0
	v_addc_co_u32_e32 v1, vcc, v1, v2, vcc
	v_add_co_u32_e32 v2, vcc, s14, v0
	global_load_dword v0, v[0:1], off
	v_mov_b32_e32 v3, s15
	v_addc_co_u32_e32 v3, vcc, v1, v3, vcc
	global_load_dword v2, v[2:3], off
	v_pack_b32_f16 v1, v4, v16
	s_waitcnt vmcnt(15)
	v_lshrrev_b32_e32 v4, 16, v5
	v_mul_f16_sdwa v16, v38, v4 dst_sel:DWORD dst_unused:UNUSED_PAD src0_sel:WORD_1 src1_sel:DWORD
	v_fma_f16 v16, v38, v5, v16
	v_mul_f16_sdwa v5, v38, v5 dst_sel:DWORD dst_unused:UNUSED_PAD src0_sel:WORD_1 src1_sel:DWORD
	v_fma_f16 v4, v38, v4, -v5
	v_pack_b32_f16 v3, v16, v4
	ds_write_b32 v32, v3 offset:392
	s_waitcnt vmcnt(14)
	v_lshrrev_b32_e32 v3, 16, v7
	v_mul_f16_sdwa v4, v35, v3 dst_sel:DWORD dst_unused:UNUSED_PAD src0_sel:WORD_1 src1_sel:DWORD
	v_mul_f16_sdwa v5, v35, v7 dst_sel:DWORD dst_unused:UNUSED_PAD src0_sel:WORD_1 src1_sel:DWORD
	v_fma_f16 v4, v35, v7, v4
	v_fma_f16 v3, v35, v3, -v5
	v_pack_b32_f16 v3, v4, v3
	ds_write_b32 v32, v3 offset:784
	s_waitcnt vmcnt(13)
	v_lshrrev_b32_e32 v3, 16, v9
	v_mul_f16_sdwa v4, v31, v3 dst_sel:DWORD dst_unused:UNUSED_PAD src0_sel:WORD_1 src1_sel:DWORD
	v_mul_f16_sdwa v5, v31, v9 dst_sel:DWORD dst_unused:UNUSED_PAD src0_sel:WORD_1 src1_sel:DWORD
	v_fma_f16 v4, v31, v9, v4
	;; [unrolled: 8-line block ×6, first 2 shown]
	v_fma_f16 v3, v26, v3, -v5
	v_pack_b32_f16 v3, v4, v3
	ds_write2_b32 v32, v1, v3 offset1:49
	s_waitcnt vmcnt(8)
	v_lshrrev_b32_e32 v1, 16, v10
	v_mul_f16_sdwa v3, v25, v1 dst_sel:DWORD dst_unused:UNUSED_PAD src0_sel:WORD_1 src1_sel:DWORD
	v_mul_f16_sdwa v4, v25, v10 dst_sel:DWORD dst_unused:UNUSED_PAD src0_sel:WORD_1 src1_sel:DWORD
	v_fma_f16 v3, v25, v10, v3
	v_fma_f16 v1, v25, v1, -v4
	v_pack_b32_f16 v1, v3, v1
	ds_write_b32 v32, v1 offset:588
	s_waitcnt vmcnt(7)
	v_lshrrev_b32_e32 v1, 16, v11
	v_mul_f16_sdwa v3, v23, v1 dst_sel:DWORD dst_unused:UNUSED_PAD src0_sel:WORD_1 src1_sel:DWORD
	v_mul_f16_sdwa v4, v23, v11 dst_sel:DWORD dst_unused:UNUSED_PAD src0_sel:WORD_1 src1_sel:DWORD
	v_fma_f16 v3, v23, v11, v3
	v_fma_f16 v1, v23, v1, -v4
	v_pack_b32_f16 v1, v3, v1
	ds_write_b32 v32, v1 offset:980
	;; [unrolled: 8-line block ×3, first 2 shown]
	s_waitcnt vmcnt(5)
	v_lshrrev_b32_e32 v1, 16, v17
	s_waitcnt vmcnt(2)
	v_mul_f16_sdwa v3, v22, v1 dst_sel:DWORD dst_unused:UNUSED_PAD src0_sel:WORD_1 src1_sel:DWORD
	v_mul_f16_sdwa v4, v22, v17 dst_sel:DWORD dst_unused:UNUSED_PAD src0_sel:WORD_1 src1_sel:DWORD
	v_fma_f16 v3, v22, v17, v3
	v_fma_f16 v1, v22, v1, -v4
	v_pack_b32_f16 v1, v3, v1
	ds_write_b32 v32, v1 offset:1764
	s_waitcnt vmcnt(1)
	v_lshrrev_b32_e32 v1, 16, v0
	v_mul_f16_sdwa v3, v20, v1 dst_sel:DWORD dst_unused:UNUSED_PAD src0_sel:WORD_1 src1_sel:DWORD
	v_fma_f16 v3, v20, v0, v3
	v_mul_f16_sdwa v0, v20, v0 dst_sel:DWORD dst_unused:UNUSED_PAD src0_sel:WORD_1 src1_sel:DWORD
	v_fma_f16 v0, v20, v1, -v0
	v_pack_b32_f16 v0, v3, v0
	ds_write_b32 v32, v0 offset:2156
	s_waitcnt vmcnt(0)
	v_lshrrev_b32_e32 v0, 16, v2
	v_mul_f16_sdwa v1, v19, v0 dst_sel:DWORD dst_unused:UNUSED_PAD src0_sel:WORD_1 src1_sel:DWORD
	v_fma_f16 v1, v19, v2, v1
	v_mul_f16_sdwa v2, v19, v2 dst_sel:DWORD dst_unused:UNUSED_PAD src0_sel:WORD_1 src1_sel:DWORD
	v_fma_f16 v0, v19, v0, -v2
	v_pack_b32_f16 v0, v1, v0
	s_load_dwordx4 s[8:11], s[10:11], 0x0
	ds_write_b32 v32, v0 offset:2548
	s_waitcnt lgkmcnt(0)
	; wave barrier
	s_waitcnt lgkmcnt(0)
	ds_read2_b32 v[0:1], v32 offset0:98 offset1:147
	ds_read2_b32 v[2:3], v32 offset0:196 offset1:245
	;; [unrolled: 1-line block ×6, first 2 shown]
	s_movk_i32 s14, 0x2b26
	s_waitcnt lgkmcnt(3)
	v_pk_add_f16 v13, v1, v5
	v_pk_add_f16 v15, v0, v4
	v_pk_add_f16 v0, v0, v4 neg_lo:[0,1] neg_hi:[0,1]
	v_pk_add_f16 v4, v1, v5 neg_lo:[0,1] neg_hi:[0,1]
	s_waitcnt lgkmcnt(2)
	v_pk_add_f16 v5, v2, v6
	v_pk_add_f16 v2, v2, v6 neg_lo:[0,1] neg_hi:[0,1]
	s_waitcnt lgkmcnt(0)
	v_pk_add_f16 v6, v8, v10
	v_pk_add_f16 v1, v5, v15
	v_pk_add_f16 v8, v10, v8 neg_lo:[0,1] neg_hi:[0,1]
	v_pk_add_f16 v14, v3, v7
	v_pk_add_f16 v3, v3, v7 neg_lo:[0,1] neg_hi:[0,1]
	;; [unrolled: 2-line block ×3, first 2 shown]
	v_pk_add_f16 v10, v8, v2
	v_pk_add_f16 v10, v10, v0
	v_pk_add_f16 v16, v0, v8 neg_lo:[0,1] neg_hi:[0,1]
	v_pk_add_f16 v17, v2, v0 neg_lo:[0,1] neg_hi:[0,1]
	v_pk_mul_f16 v18, v1, s12 op_sel_hi:[1,0]
	ds_read2_b32 v[0:1], v32 offset1:49
	v_pk_add_f16 v15, v15, v6 neg_lo:[0,1] neg_hi:[0,1]
	v_pk_mul_f16 v15, v15, s19 op_sel_hi:[1,0]
	v_pk_mul_f16 v17, v17, s21 op_sel_hi:[1,0]
	v_pk_add_f16 v5, v6, v5 neg_lo:[0,1] neg_hi:[0,1]
	s_waitcnt lgkmcnt(0)
	v_pk_add_f16 v0, v0, v7
	v_pk_add_f16 v2, v8, v2 neg_lo:[0,1] neg_hi:[0,1]
	s_mov_b32 s15, 0xb846
	v_pk_fma_f16 v7, v7, s20, v0 op_sel_hi:[1,0,1] neg_lo:[1,0,0] neg_hi:[1,0,0]
	v_pk_add_f16 v39, v15, v18 op_sel:[1,1] op_sel_hi:[0,0] neg_lo:[1,1] neg_hi:[1,1]
	v_pk_fma_f16 v40, v16, s13, v17 op_sel_hi:[1,0,1] neg_lo:[1,0,1] neg_hi:[1,0,1]
	v_pk_fma_f16 v6, v5, s14, v18 op_sel_hi:[1,0,1] neg_lo:[1,0,0] neg_hi:[1,0,0]
	;; [unrolled: 1-line block ×3, first 2 shown]
	v_pk_add_f16 v39, v39, v7 op_sel:[0,1] op_sel_hi:[1,0]
	v_pk_fma_f16 v40, v10, s22, v40 op_sel_hi:[1,0,1]
	v_pk_add_f16 v6, v6, v7
	v_pk_fma_f16 v8, v10, s22, v8 op_sel_hi:[1,0,1]
	v_pk_add_f16 v41, v39, v40
	v_pk_add_f16 v39, v39, v40 neg_lo:[0,1] neg_hi:[0,1]
	v_pk_add_f16 v17, v6, v8 op_sel:[0,1] op_sel_hi:[1,0] neg_lo:[0,1] neg_hi:[0,1]
	v_pk_add_f16 v6, v6, v8 op_sel:[0,1] op_sel_hi:[1,0]
	v_mul_lo_u16_e32 v8, 7, v34
	v_lshlrev_b32_e32 v40, 2, v8
	v_alignbit_b32 v8, v39, v41, 16
	v_bfi_b32 v18, s18, v17, v6
	s_waitcnt lgkmcnt(0)
	; wave barrier
	ds_write2_b32 v40, v8, v18 offset0:2 offset1:3
	v_bfi_b32 v6, s18, v6, v17
	v_alignbit_b32 v8, v41, v39, 16
	ds_write2_b32 v40, v6, v8 offset0:4 offset1:5
	v_pk_mul_f16 v6, v16, s13 op_sel_hi:[1,0]
	v_pk_fma_f16 v5, v5, s14, v15 op_sel_hi:[1,0,1]
	v_pk_fma_f16 v2, v2, s15, v6 op_sel_hi:[1,0,1]
	v_pk_add_f16 v5, v5, v7
	v_pk_fma_f16 v2, v10, s22, v2 op_sel_hi:[1,0,1]
	v_pk_add_f16 v6, v5, v2 op_sel:[0,1] op_sel_hi:[1,0]
	v_pk_add_f16 v2, v5, v2 op_sel:[0,1] op_sel_hi:[1,0] neg_lo:[0,1] neg_hi:[0,1]
	v_bfi_b32 v5, s18, v6, v2
	v_bfi_b32 v2, s18, v2, v6
	ds_write2_b32 v40, v0, v5 offset1:1
	v_pk_add_f16 v0, v9, v11
	v_pk_add_f16 v5, v14, v13
	ds_write_b32 v40, v2 offset:24
	v_pk_add_f16 v2, v11, v9 neg_lo:[0,1] neg_hi:[0,1]
	v_pk_add_f16 v5, v0, v5
	v_pk_add_f16 v6, v14, v13 neg_lo:[0,1] neg_hi:[0,1]
	v_pk_add_f16 v7, v13, v0 neg_lo:[0,1] neg_hi:[0,1]
	v_pk_add_f16 v8, v2, v3
	v_pk_add_f16 v10, v3, v4 neg_lo:[0,1] neg_hi:[0,1]
	v_pk_add_f16 v1, v1, v5
	;; [unrolled: 2-line block ×3, first 2 shown]
	v_pk_mul_f16 v7, v7, s19 op_sel_hi:[1,0]
	v_pk_mul_f16 v6, v6, s12 op_sel_hi:[1,0]
	;; [unrolled: 1-line block ×3, first 2 shown]
	v_pk_fma_f16 v5, v5, s20, v1 op_sel_hi:[1,0,1] neg_lo:[1,0,0] neg_hi:[1,0,0]
	v_pk_add_f16 v10, v7, v6 op_sel:[1,1] op_sel_hi:[0,0] neg_lo:[1,1] neg_hi:[1,1]
	v_pk_fma_f16 v11, v9, s13, v8 op_sel_hi:[1,0,1] neg_lo:[1,0,1] neg_hi:[1,0,1]
	v_pk_add_f16 v0, v0, v14 neg_lo:[0,1] neg_hi:[0,1]
	v_pk_add_f16 v2, v2, v3 neg_lo:[0,1] neg_hi:[0,1]
	v_pk_add_f16 v10, v10, v5 op_sel:[0,1] op_sel_hi:[1,0]
	v_pk_fma_f16 v11, v4, s22, v11 op_sel_hi:[1,0,1]
	v_pk_fma_f16 v3, v0, s14, v6 op_sel_hi:[1,0,1] neg_lo:[1,0,0] neg_hi:[1,0,0]
	v_pk_fma_f16 v6, v2, s15, v8 op_sel_hi:[1,0,1] neg_lo:[1,0,0] neg_hi:[1,0,0]
	v_pk_add_f16 v13, v10, v11
	v_pk_add_f16 v10, v10, v11 neg_lo:[0,1] neg_hi:[0,1]
	v_add_co_u32_e32 v11, vcc, 49, v34
	v_pk_add_f16 v3, v3, v5
	v_pk_fma_f16 v6, v4, s22, v6 op_sel_hi:[1,0,1]
	v_pk_add_f16 v8, v3, v6 op_sel:[0,1] op_sel_hi:[1,0] neg_lo:[0,1] neg_hi:[0,1]
	v_pk_add_f16 v3, v3, v6 op_sel:[0,1] op_sel_hi:[1,0]
	v_mul_u32_u24_e32 v6, 7, v11
	v_lshlrev_b32_e32 v41, 2, v6
	v_alignbit_b32 v6, v10, v13, 16
	v_bfi_b32 v14, s18, v8, v3
	ds_write2_b32 v41, v6, v14 offset0:2 offset1:3
	v_pk_mul_f16 v6, v9, s13 op_sel_hi:[1,0]
	v_pk_fma_f16 v0, v0, s14, v7 op_sel_hi:[1,0,1]
	v_pk_fma_f16 v2, v2, s15, v6 op_sel_hi:[1,0,1]
	v_bfi_b32 v3, s18, v3, v8
	v_alignbit_b32 v8, v13, v10, 16
	v_pk_add_f16 v0, v0, v5
	v_pk_fma_f16 v2, v4, s22, v2 op_sel_hi:[1,0,1]
	ds_write2_b32 v41, v3, v8 offset0:4 offset1:5
	v_pk_add_f16 v3, v0, v2 op_sel:[0,1] op_sel_hi:[1,0]
	v_pk_add_f16 v0, v0, v2 op_sel:[0,1] op_sel_hi:[1,0] neg_lo:[0,1] neg_hi:[0,1]
	v_bfi_b32 v2, s18, v0, v3
	v_bfi_b32 v0, s18, v3, v0
	v_mov_b32_e32 v4, 37
	ds_write2_b32 v41, v1, v0 offset1:1
	ds_write_b32 v41, v2 offset:24
	v_mul_lo_u16_sdwa v0, v34, v4 dst_sel:DWORD dst_unused:UNUSED_PAD src0_sel:BYTE_0 src1_sel:DWORD
	v_sub_u16_sdwa v1, v34, v0 dst_sel:DWORD dst_unused:UNUSED_PAD src0_sel:DWORD src1_sel:BYTE_1
	v_lshrrev_b16_e32 v1, 1, v1
	v_and_b32_e32 v1, 0x7f, v1
	v_add_u16_sdwa v0, v1, v0 dst_sel:DWORD dst_unused:UNUSED_PAD src0_sel:DWORD src1_sel:BYTE_1
	v_lshrrev_b16_e32 v5, 2, v0
	v_mul_lo_u16_e32 v0, 7, v5
	v_sub_u16_e32 v0, v34, v0
	v_and_b32_e32 v6, 0xff, v0
	v_mul_u32_u24_e32 v0, 6, v6
	v_lshlrev_b32_e32 v7, 2, v0
	s_waitcnt lgkmcnt(0)
	; wave barrier
	s_waitcnt lgkmcnt(0)
	global_load_dwordx4 v[0:3], v7, s[2:3]
	global_load_dwordx2 v[13:14], v7, s[2:3] offset:16
	v_mul_lo_u16_sdwa v4, v11, v4 dst_sel:DWORD dst_unused:UNUSED_PAD src0_sel:BYTE_0 src1_sel:DWORD
	v_sub_u16_sdwa v7, v11, v4 dst_sel:DWORD dst_unused:UNUSED_PAD src0_sel:DWORD src1_sel:BYTE_1
	v_lshrrev_b16_e32 v7, 1, v7
	v_and_b32_e32 v9, 0x7f, v7
	ds_read2_b32 v[7:8], v32 offset0:98 offset1:147
	v_add_u16_sdwa v4, v9, v4 dst_sel:DWORD dst_unused:UNUSED_PAD src0_sel:DWORD src1_sel:BYTE_1
	ds_read2_b32 v[9:10], v30 offset0:76 offset1:125
	v_lshrrev_b16_e32 v18, 2, v4
	v_mul_lo_u16_e32 v4, 7, v18
	v_sub_u16_e32 v4, v11, v4
	s_waitcnt lgkmcnt(1)
	v_lshrrev_b32_e32 v11, 16, v7
	ds_read2_b32 v[42:43], v33 offset0:106 offset1:155
	ds_read2_b32 v[44:45], v36 offset0:38 offset1:87
	;; [unrolled: 1-line block ×3, first 2 shown]
	v_and_b32_e32 v58, 0xff, v4
	v_mul_u32_u24_e32 v5, 49, v5
	v_mul_u32_u24_e32 v4, 6, v58
	v_lshlrev_b32_e32 v59, 2, v4
	ds_read2_b32 v[48:49], v32 offset1:49
	s_mov_b32 s15, 0xbcab
	v_mul_u32_u24_e32 v18, 49, v18
	s_waitcnt vmcnt(1)
	v_mul_f16_sdwa v15, v7, v0 dst_sel:DWORD dst_unused:UNUSED_PAD src0_sel:DWORD src1_sel:WORD_1
	v_fma_f16 v15, v11, v0, v15
	v_mul_f16_sdwa v11, v11, v0 dst_sel:DWORD dst_unused:UNUSED_PAD src0_sel:DWORD src1_sel:WORD_1
	v_fma_f16 v7, v7, v0, -v11
	s_waitcnt lgkmcnt(4)
	v_lshrrev_b32_e32 v11, 16, v9
	s_waitcnt vmcnt(0)
	v_mul_f16_sdwa v16, v9, v14 dst_sel:DWORD dst_unused:UNUSED_PAD src0_sel:DWORD src1_sel:WORD_1
	v_fma_f16 v39, v11, v14, v16
	ds_read2_b32 v[16:17], v32 offset0:196 offset1:245
	v_mul_f16_sdwa v11, v11, v14 dst_sel:DWORD dst_unused:UNUSED_PAD src0_sel:DWORD src1_sel:WORD_1
	v_fma_f16 v9, v9, v14, -v11
	v_add_f16_e32 v11, v7, v9
	v_sub_f16_e32 v9, v7, v9
	v_add_f16_e32 v50, v15, v39
	v_sub_f16_e32 v51, v15, v39
	s_waitcnt lgkmcnt(0)
	v_lshrrev_b32_e32 v7, 16, v16
	v_mul_f16_sdwa v15, v16, v1 dst_sel:DWORD dst_unused:UNUSED_PAD src0_sel:DWORD src1_sel:WORD_1
	v_fma_f16 v15, v7, v1, v15
	v_mul_f16_sdwa v7, v7, v1 dst_sel:DWORD dst_unused:UNUSED_PAD src0_sel:DWORD src1_sel:WORD_1
	v_fma_f16 v7, v16, v1, -v7
	v_lshrrev_b32_e32 v16, 16, v42
	v_mul_f16_sdwa v39, v42, v13 dst_sel:DWORD dst_unused:UNUSED_PAD src0_sel:DWORD src1_sel:WORD_1
	v_fma_f16 v39, v16, v13, v39
	v_mul_f16_sdwa v16, v16, v13 dst_sel:DWORD dst_unused:UNUSED_PAD src0_sel:DWORD src1_sel:WORD_1
	v_fma_f16 v16, v42, v13, -v16
	v_add_f16_e32 v42, v7, v16
	v_sub_f16_e32 v52, v7, v16
	v_add_f16_e32 v53, v15, v39
	v_sub_f16_e32 v54, v15, v39
	v_lshrrev_b32_e32 v7, 16, v44
	v_mul_f16_sdwa v15, v44, v2 dst_sel:DWORD dst_unused:UNUSED_PAD src0_sel:DWORD src1_sel:WORD_1
	v_lshrrev_b32_e32 v16, 16, v46
	v_mul_f16_sdwa v39, v46, v3 dst_sel:DWORD dst_unused:UNUSED_PAD src0_sel:DWORD src1_sel:WORD_1
	v_fma_f16 v15, v7, v2, v15
	v_mul_f16_sdwa v7, v7, v2 dst_sel:DWORD dst_unused:UNUSED_PAD src0_sel:DWORD src1_sel:WORD_1
	v_fma_f16 v39, v16, v3, v39
	v_mul_f16_sdwa v16, v16, v3 dst_sel:DWORD dst_unused:UNUSED_PAD src0_sel:DWORD src1_sel:WORD_1
	v_fma_f16 v7, v44, v2, -v7
	v_fma_f16 v16, v46, v3, -v16
	v_add_f16_e32 v44, v7, v16
	v_add_f16_e32 v55, v15, v39
	v_sub_f16_e32 v56, v39, v15
	v_add_lshl_u32 v39, v5, v6, 2
	v_add_f16_e32 v5, v42, v11
	v_sub_f16_e32 v46, v16, v7
	v_add_f16_e32 v57, v44, v5
	global_load_dwordx2 v[15:16], v59, s[2:3] offset:16
	global_load_dwordx4 v[4:7], v59, s[2:3]
	v_add_f16_e32 v59, v53, v50
	v_add_f16_e32 v59, v55, v59
	;; [unrolled: 1-line block ×3, first 2 shown]
	v_add_f16_sdwa v48, v48, v59 dst_sel:DWORD dst_unused:UNUSED_PAD src0_sel:WORD_1 src1_sel:DWORD
	v_fma_f16 v57, v57, s15, v60
	v_fma_f16 v59, v59, s15, v48
	v_pack_b32_f16 v48, v60, v48
	v_sub_f16_e32 v60, v11, v44
	v_sub_f16_e32 v61, v50, v55
	;; [unrolled: 1-line block ×6, first 2 shown]
	v_add_f16_e32 v62, v46, v52
	v_sub_f16_e32 v46, v9, v46
	v_add_f16_e32 v64, v56, v54
	v_sub_f16_e32 v56, v51, v56
	v_mul_f16_e32 v60, 0x3a52, v60
	v_mul_f16_e32 v61, 0x3a52, v61
	;; [unrolled: 1-line block ×4, first 2 shown]
	v_add_f16_e32 v62, v62, v9
	v_add_f16_e32 v64, v64, v51
	v_fma_f16 v66, v44, s14, v60
	v_fma_f16 v67, v55, s14, v61
	v_fma_f16 v68, v46, s13, v63
	v_fma_f16 v69, v56, s13, v65
	v_add_f16_e32 v66, v66, v57
	v_add_f16_e32 v67, v67, v59
	v_fma_f16 v68, v62, s22, v68
	v_fma_f16 v69, v64, s22, v69
	v_add_f16_e32 v70, v69, v66
	v_sub_f16_e32 v71, v67, v68
	v_pack_b32_f16 v70, v70, v71
	v_sub_f16_e32 v9, v52, v9
	s_waitcnt lgkmcnt(0)
	; wave barrier
	ds_write2_b32 v39, v48, v70 offset1:7
	v_sub_f16_e32 v48, v54, v51
	v_fma_f16 v51, v9, s21, -v63
	v_mul_f16_e32 v9, 0xbb00, v9
	v_sub_f16_e32 v11, v42, v11
	v_sub_f16_e32 v42, v53, v50
	v_mul_f16_e32 v44, 0x2b26, v44
	v_mul_f16_e32 v50, 0x2b26, v55
	v_fma_f16 v9, v46, s17, v9
	v_fma_f16 v46, v48, s21, -v65
	v_mul_f16_e32 v48, 0xbb00, v48
	v_fma_f16 v44, v11, s12, -v44
	v_fma_f16 v11, v11, s16, -v60
	;; [unrolled: 1-line block ×4, first 2 shown]
	v_fma_f16 v48, v56, s17, v48
	v_add_f16_e32 v11, v11, v57
	v_add_f16_e32 v42, v42, v59
	v_fma_f16 v9, v62, s22, v9
	v_fma_f16 v48, v64, s22, v48
	v_add_f16_e32 v44, v44, v57
	v_add_f16_e32 v50, v50, v59
	v_fma_f16 v51, v62, s22, v51
	v_fma_f16 v46, v64, s22, v46
	v_add_f16_e32 v52, v48, v11
	v_sub_f16_e32 v53, v42, v9
	v_pack_b32_f16 v52, v52, v53
	v_sub_f16_e32 v53, v44, v46
	v_add_f16_e32 v44, v46, v44
	v_sub_f16_e32 v46, v50, v51
	v_sub_f16_e32 v11, v11, v48
	v_add_f16_e32 v9, v9, v42
	v_pack_b32_f16 v42, v44, v46
	v_pack_b32_f16 v9, v11, v9
	ds_write2_b32 v39, v42, v9 offset0:28 offset1:35
	v_lshrrev_b32_e32 v9, 16, v8
	v_add_f16_e32 v54, v51, v50
	v_pack_b32_f16 v53, v53, v54
	ds_write2_b32 v39, v52, v53 offset0:14 offset1:21
	v_add_f16_e32 v51, v68, v67
	s_waitcnt vmcnt(0)
	v_mul_f16_sdwa v11, v9, v4 dst_sel:DWORD dst_unused:UNUSED_PAD src0_sel:DWORD src1_sel:WORD_1
	v_fma_f16 v11, v8, v4, -v11
	v_mul_f16_sdwa v8, v8, v4 dst_sel:DWORD dst_unused:UNUSED_PAD src0_sel:DWORD src1_sel:WORD_1
	v_fma_f16 v8, v9, v4, v8
	v_lshrrev_b32_e32 v9, 16, v17
	v_mul_f16_sdwa v42, v9, v5 dst_sel:DWORD dst_unused:UNUSED_PAD src0_sel:DWORD src1_sel:WORD_1
	v_fma_f16 v42, v17, v5, -v42
	v_mul_f16_sdwa v17, v17, v5 dst_sel:DWORD dst_unused:UNUSED_PAD src0_sel:DWORD src1_sel:WORD_1
	v_fma_f16 v9, v9, v5, v17
	v_lshrrev_b32_e32 v17, 16, v45
	;; [unrolled: 5-line block ×5, first 2 shown]
	v_mul_f16_sdwa v50, v47, v16 dst_sel:DWORD dst_unused:UNUSED_PAD src0_sel:DWORD src1_sel:WORD_1
	v_fma_f16 v50, v10, v16, -v50
	v_mul_f16_sdwa v10, v10, v16 dst_sel:DWORD dst_unused:UNUSED_PAD src0_sel:DWORD src1_sel:WORD_1
	v_fma_f16 v10, v47, v16, v10
	v_add_f16_e32 v52, v11, v50
	v_sub_f16_e32 v11, v11, v50
	v_add_f16_e32 v50, v8, v10
	v_sub_f16_e32 v8, v8, v10
	;; [unrolled: 2-line block ×4, first 2 shown]
	v_add_f16_e32 v43, v44, v46
	v_add_f16_e32 v42, v10, v52
	v_sub_f16_e32 v44, v46, v44
	v_add_f16_e32 v46, v17, v45
	v_sub_f16_e32 v17, v45, v17
	v_add_f16_e32 v45, v43, v42
	v_add_f16_e32 v42, v53, v50
	v_sub_f16_e32 v47, v66, v69
	v_add_f16_e32 v54, v46, v42
	v_add_f16_e32 v55, v49, v45
	v_add_f16_sdwa v49, v49, v54 dst_sel:DWORD dst_unused:UNUSED_PAD src0_sel:WORD_1 src1_sel:DWORD
	v_pack_b32_f16 v42, v47, v51
	ds_write_b32 v39, v42 offset:168
	v_add_lshl_u32 v42, v18, v58, 2
	v_fma_f16 v18, v45, s15, v55
	v_fma_f16 v45, v54, s15, v49
	v_pack_b32_f16 v47, v55, v49
	v_sub_f16_e32 v49, v52, v43
	v_sub_f16_e32 v51, v50, v46
	v_sub_f16_e32 v55, v44, v48
	v_sub_f16_e32 v57, v17, v9
	v_sub_f16_e32 v43, v43, v10
	v_sub_f16_e32 v46, v46, v53
	v_add_f16_e32 v54, v44, v48
	v_sub_f16_e32 v44, v11, v44
	v_add_f16_e32 v56, v17, v9
	v_sub_f16_e32 v17, v8, v17
	v_mul_f16_e32 v49, 0x3a52, v49
	v_mul_f16_e32 v51, 0x3a52, v51
	;; [unrolled: 1-line block ×4, first 2 shown]
	v_add_f16_e32 v54, v54, v11
	v_add_f16_e32 v56, v56, v8
	v_fma_f16 v58, v43, s14, v49
	v_fma_f16 v59, v46, s14, v51
	;; [unrolled: 1-line block ×4, first 2 shown]
	v_add_f16_e32 v58, v58, v18
	v_add_f16_e32 v59, v59, v45
	v_fma_f16 v60, v54, s22, v60
	v_fma_f16 v61, v56, s22, v61
	v_add_f16_e32 v62, v61, v58
	v_sub_f16_e32 v63, v59, v60
	v_pack_b32_f16 v62, v62, v63
	ds_write2_b32 v42, v47, v62 offset1:7
	v_sub_f16_e32 v47, v53, v50
	v_sub_f16_e32 v11, v48, v11
	;; [unrolled: 1-line block ×3, first 2 shown]
	v_mul_f16_e32 v9, 0x2b26, v43
	v_mul_f16_e32 v43, 0x2b26, v46
	v_fma_f16 v43, v47, s12, -v43
	v_fma_f16 v46, v47, s16, -v51
	;; [unrolled: 1-line block ×3, first 2 shown]
	v_mul_f16_e32 v11, 0xbb00, v11
	v_sub_f16_e32 v10, v10, v52
	v_fma_f16 v11, v44, s17, v11
	v_fma_f16 v44, v8, s21, -v57
	v_mul_f16_e32 v8, 0xbb00, v8
	v_fma_f16 v9, v10, s12, -v9
	v_fma_f16 v10, v10, s16, -v49
	v_fma_f16 v8, v17, s17, v8
	v_add_f16_e32 v9, v9, v18
	v_add_f16_e32 v10, v10, v18
	;; [unrolled: 1-line block ×3, first 2 shown]
	v_fma_f16 v11, v54, s22, v11
	v_fma_f16 v8, v56, s22, v8
	v_add_f16_e32 v17, v43, v45
	v_fma_f16 v43, v54, s22, v47
	v_fma_f16 v44, v56, s22, v44
	v_add_f16_e32 v45, v8, v10
	v_sub_f16_e32 v46, v18, v11
	v_pack_b32_f16 v45, v45, v46
	v_sub_f16_e32 v46, v9, v44
	v_add_f16_e32 v47, v43, v17
	v_add_f16_e32 v9, v44, v9
	v_sub_f16_e32 v17, v17, v43
	v_sub_f16_e32 v8, v10, v8
	v_add_f16_e32 v10, v11, v18
	v_mad_u64_u32 v[43:44], s[2:3], v34, 24, s[2:3]
	v_pack_b32_f16 v9, v9, v17
	v_pack_b32_f16 v8, v8, v10
	ds_write2_b32 v42, v9, v8 offset0:28 offset1:35
	v_sub_f16_e32 v8, v58, v61
	v_add_f16_e32 v9, v60, v59
	v_pack_b32_f16 v46, v46, v47
	v_pack_b32_f16 v8, v8, v9
	ds_write2_b32 v42, v45, v46 offset0:14 offset1:21
	ds_write_b32 v42, v8 offset:168
	s_waitcnt lgkmcnt(0)
	; wave barrier
	s_waitcnt lgkmcnt(0)
	global_load_dwordx4 v[8:11], v[43:44], off offset:168
	global_load_dwordx2 v[17:18], v[43:44], off offset:184
	v_mul_i32_i24_e32 v48, 0xffffffec, v34
	ds_read2_b32 v[45:46], v32 offset0:98 offset1:147
	v_mul_hi_i32_i24_e32 v47, 0xffffffec, v34
	v_add_co_u32_e32 v49, vcc, v43, v48
	v_addc_co_u32_e32 v50, vcc, v44, v47, vcc
	ds_read2_b32 v[43:44], v30 offset0:76 offset1:125
	s_waitcnt lgkmcnt(1)
	v_lshrrev_b32_e32 v47, 16, v45
	s_movk_i32 s2, 0x3846
	s_waitcnt vmcnt(1)
	v_mul_f16_sdwa v48, v45, v8 dst_sel:DWORD dst_unused:UNUSED_PAD src0_sel:DWORD src1_sel:WORD_1
	v_fma_f16 v51, v47, v8, v48
	v_mul_f16_sdwa v47, v47, v8 dst_sel:DWORD dst_unused:UNUSED_PAD src0_sel:DWORD src1_sel:WORD_1
	v_fma_f16 v45, v45, v8, -v47
	s_waitcnt lgkmcnt(0)
	v_lshrrev_b32_e32 v47, 16, v43
	s_waitcnt vmcnt(0)
	v_mul_f16_sdwa v48, v43, v18 dst_sel:DWORD dst_unused:UNUSED_PAD src0_sel:DWORD src1_sel:WORD_1
	v_fma_f16 v52, v47, v18, v48
	v_mul_f16_sdwa v47, v47, v18 dst_sel:DWORD dst_unused:UNUSED_PAD src0_sel:DWORD src1_sel:WORD_1
	v_fma_f16 v43, v43, v18, -v47
	ds_read2_b32 v[47:48], v32 offset0:196 offset1:245
	v_add_f16_e32 v59, v45, v43
	v_sub_f16_e32 v43, v45, v43
	v_add_f16_e32 v45, v51, v52
	v_sub_f16_e32 v60, v51, v52
	ds_read2_b32 v[51:52], v33 offset0:106 offset1:155
	s_waitcnt lgkmcnt(1)
	v_lshrrev_b32_e32 v53, 16, v47
	v_mul_f16_sdwa v54, v47, v9 dst_sel:DWORD dst_unused:UNUSED_PAD src0_sel:DWORD src1_sel:WORD_1
	v_fma_f16 v55, v53, v9, v54
	v_mul_f16_sdwa v53, v53, v9 dst_sel:DWORD dst_unused:UNUSED_PAD src0_sel:DWORD src1_sel:WORD_1
	v_fma_f16 v47, v47, v9, -v53
	s_waitcnt lgkmcnt(0)
	v_lshrrev_b32_e32 v53, 16, v51
	v_mul_f16_sdwa v54, v51, v17 dst_sel:DWORD dst_unused:UNUSED_PAD src0_sel:DWORD src1_sel:WORD_1
	v_fma_f16 v56, v53, v17, v54
	v_mul_f16_sdwa v53, v53, v17 dst_sel:DWORD dst_unused:UNUSED_PAD src0_sel:DWORD src1_sel:WORD_1
	v_fma_f16 v51, v51, v17, -v53
	ds_read2_b32 v[53:54], v36 offset0:38 offset1:87
	v_add_f16_e32 v61, v47, v51
	v_sub_f16_e32 v47, v47, v51
	v_add_f16_e32 v51, v55, v56
	v_sub_f16_e32 v62, v55, v56
	ds_read2_b32 v[55:56], v36 offset0:136 offset1:185
	s_waitcnt lgkmcnt(1)
	v_lshrrev_b32_e32 v57, 16, v53
	v_mul_f16_sdwa v58, v53, v10 dst_sel:DWORD dst_unused:UNUSED_PAD src0_sel:DWORD src1_sel:WORD_1
	v_fma_f16 v58, v57, v10, v58
	v_mul_f16_sdwa v57, v57, v10 dst_sel:DWORD dst_unused:UNUSED_PAD src0_sel:DWORD src1_sel:WORD_1
	v_fma_f16 v53, v53, v10, -v57
	s_waitcnt lgkmcnt(0)
	v_lshrrev_b32_e32 v57, 16, v55
	v_mul_f16_sdwa v63, v55, v11 dst_sel:DWORD dst_unused:UNUSED_PAD src0_sel:DWORD src1_sel:WORD_1
	v_fma_f16 v63, v57, v11, v63
	v_mul_f16_sdwa v57, v57, v11 dst_sel:DWORD dst_unused:UNUSED_PAD src0_sel:DWORD src1_sel:WORD_1
	v_fma_f16 v55, v55, v11, -v57
	v_add_f16_e32 v64, v53, v55
	v_sub_f16_e32 v53, v55, v53
	v_add_f16_e32 v55, v58, v63
	v_sub_f16_e32 v63, v63, v58
	ds_read2_b32 v[57:58], v32 offset1:49
	v_add_f16_e32 v65, v61, v59
	v_add_f16_e32 v66, v51, v45
	;; [unrolled: 1-line block ×4, first 2 shown]
	s_waitcnt lgkmcnt(0)
	v_add_f16_e32 v67, v57, v65
	v_add_f16_sdwa v57, v57, v66 dst_sel:DWORD dst_unused:UNUSED_PAD src0_sel:WORD_1 src1_sel:DWORD
	v_fma_f16 v65, v65, s15, v67
	v_fma_f16 v66, v66, s15, v57
	v_pack_b32_f16 v57, v67, v57
	v_sub_f16_e32 v67, v59, v64
	v_sub_f16_e32 v68, v45, v55
	;; [unrolled: 1-line block ×6, first 2 shown]
	v_add_f16_e32 v69, v53, v47
	v_sub_f16_e32 v53, v43, v53
	v_add_f16_e32 v71, v63, v62
	v_sub_f16_e32 v63, v60, v63
	v_mul_f16_e32 v67, 0x3a52, v67
	v_mul_f16_e32 v68, 0x3a52, v68
	;; [unrolled: 1-line block ×4, first 2 shown]
	v_add_f16_e32 v69, v69, v43
	v_add_f16_e32 v71, v71, v60
	v_fma_f16 v73, v64, s14, v67
	v_fma_f16 v74, v55, s14, v68
	;; [unrolled: 1-line block ×4, first 2 shown]
	v_add_f16_e32 v73, v73, v65
	v_add_f16_e32 v74, v74, v66
	v_fma_f16 v75, v69, s22, v75
	v_fma_f16 v76, v71, s22, v76
	v_add_f16_e32 v77, v76, v73
	v_sub_f16_e32 v78, v74, v75
	v_pack_b32_f16 v77, v77, v78
	v_sub_f16_e32 v43, v47, v43
	s_waitcnt lgkmcnt(0)
	; wave barrier
	ds_write2_b32 v32, v57, v77 offset1:49
	v_sub_f16_e32 v57, v61, v59
	v_sub_f16_e32 v47, v62, v60
	v_fma_f16 v59, v43, s21, -v70
	v_mul_f16_e32 v43, 0xbb00, v43
	v_sub_f16_e32 v45, v51, v45
	v_mul_f16_e32 v51, 0x2b26, v64
	v_mul_f16_e32 v55, 0x2b26, v55
	v_fma_f16 v43, v53, s17, v43
	v_fma_f16 v53, v47, s21, -v72
	v_mul_f16_e32 v47, 0xbb00, v47
	v_fma_f16 v51, v57, s12, -v51
	v_fma_f16 v57, v57, s16, -v67
	;; [unrolled: 1-line block ×4, first 2 shown]
	v_fma_f16 v47, v63, s17, v47
	v_add_f16_e32 v57, v57, v65
	v_add_f16_e32 v45, v45, v66
	v_fma_f16 v43, v69, s22, v43
	v_fma_f16 v47, v71, s22, v47
	v_add_f16_e32 v51, v51, v65
	v_add_f16_e32 v55, v55, v66
	v_fma_f16 v59, v69, s22, v59
	v_fma_f16 v53, v71, s22, v53
	v_add_f16_e32 v60, v47, v57
	v_sub_f16_e32 v61, v45, v43
	v_pack_b32_f16 v60, v60, v61
	v_sub_f16_e32 v61, v51, v53
	v_add_f16_e32 v51, v53, v51
	v_sub_f16_e32 v53, v55, v59
	v_sub_f16_e32 v47, v57, v47
	v_add_f16_e32 v43, v43, v45
	v_pack_b32_f16 v45, v51, v53
	v_pack_b32_f16 v43, v47, v43
	ds_write2_b32 v32, v45, v43 offset0:196 offset1:245
	v_lshrrev_b32_e32 v43, 16, v46
	v_mul_f16_sdwa v45, v43, v8 dst_sel:DWORD dst_unused:UNUSED_PAD src0_sel:DWORD src1_sel:WORD_1
	v_fma_f16 v45, v46, v8, -v45
	v_mul_f16_sdwa v46, v46, v8 dst_sel:DWORD dst_unused:UNUSED_PAD src0_sel:DWORD src1_sel:WORD_1
	v_fma_f16 v43, v43, v8, v46
	v_lshrrev_b32_e32 v46, 16, v48
	v_mul_f16_sdwa v47, v46, v9 dst_sel:DWORD dst_unused:UNUSED_PAD src0_sel:DWORD src1_sel:WORD_1
	v_fma_f16 v47, v48, v9, -v47
	v_mul_f16_sdwa v48, v48, v9 dst_sel:DWORD dst_unused:UNUSED_PAD src0_sel:DWORD src1_sel:WORD_1
	v_fma_f16 v46, v46, v9, v48
	v_lshrrev_b32_e32 v48, 16, v54
	v_mul_f16_sdwa v53, v54, v10 dst_sel:DWORD dst_unused:UNUSED_PAD src0_sel:DWORD src1_sel:WORD_1
	v_add_f16_e32 v62, v59, v55
	v_mul_f16_sdwa v51, v48, v10 dst_sel:DWORD dst_unused:UNUSED_PAD src0_sel:DWORD src1_sel:WORD_1
	v_fma_f16 v48, v48, v10, v53
	v_lshrrev_b32_e32 v53, 16, v56
	v_mul_f16_sdwa v55, v56, v11 dst_sel:DWORD dst_unused:UNUSED_PAD src0_sel:DWORD src1_sel:WORD_1
	v_fma_f16 v51, v54, v10, -v51
	v_mul_f16_sdwa v54, v53, v11 dst_sel:DWORD dst_unused:UNUSED_PAD src0_sel:DWORD src1_sel:WORD_1
	v_fma_f16 v53, v53, v11, v55
	v_lshrrev_b32_e32 v55, 16, v52
	v_fma_f16 v54, v56, v11, -v54
	v_mul_f16_sdwa v56, v55, v17 dst_sel:DWORD dst_unused:UNUSED_PAD src0_sel:DWORD src1_sel:WORD_1
	v_fma_f16 v56, v52, v17, -v56
	v_mul_f16_sdwa v52, v52, v17 dst_sel:DWORD dst_unused:UNUSED_PAD src0_sel:DWORD src1_sel:WORD_1
	v_fma_f16 v52, v55, v17, v52
	v_lshrrev_b32_e32 v55, 16, v44
	v_mul_f16_sdwa v57, v55, v18 dst_sel:DWORD dst_unused:UNUSED_PAD src0_sel:DWORD src1_sel:WORD_1
	v_fma_f16 v57, v44, v18, -v57
	v_mul_f16_sdwa v44, v44, v18 dst_sel:DWORD dst_unused:UNUSED_PAD src0_sel:DWORD src1_sel:WORD_1
	v_pack_b32_f16 v61, v61, v62
	v_fma_f16 v44, v55, v18, v44
	ds_write2_b32 v32, v60, v61 offset0:98 offset1:147
	v_add_f16_e32 v60, v45, v57
	v_add_f16_e32 v61, v47, v56
	;; [unrolled: 1-line block ×10, first 2 shown]
	v_sub_f16_e32 v55, v73, v76
	v_add_f16_e32 v59, v75, v74
	v_add_f16_e32 v68, v58, v63
	v_add_f16_sdwa v58, v58, v67 dst_sel:DWORD dst_unused:UNUSED_PAD src0_sel:WORD_1 src1_sel:DWORD
	v_sub_f16_e32 v43, v43, v44
	v_sub_f16_e32 v44, v47, v56
	;; [unrolled: 1-line block ×3, first 2 shown]
	v_pack_b32_f16 v55, v55, v59
	v_pack_b32_f16 v59, v68, v58
	v_sub_f16_e32 v45, v45, v57
	v_sub_f16_e32 v46, v46, v52
	;; [unrolled: 1-line block ×4, first 2 shown]
	v_add_f16_e32 v57, v47, v44
	ds_write2_b32 v36, v55, v59 offset0:38 offset1:87
	v_sub_f16_e32 v53, v62, v61
	v_sub_f16_e32 v59, v47, v44
	;; [unrolled: 1-line block ×4, first 2 shown]
	v_add_f16_e32 v45, v57, v45
	v_add_f16_e32 v57, v48, v46
	v_mul_f16_e32 v52, 0x3a52, v52
	v_sub_f16_e32 v51, v61, v60
	v_sub_f16_e32 v56, v66, v65
	;; [unrolled: 1-line block ×5, first 2 shown]
	v_add_f16_e32 v43, v57, v43
	v_fma_f16 v57, v63, s15, v68
	v_fma_f16 v63, v53, s14, v52
	v_mul_f16_e32 v53, 0x2b26, v53
	v_sub_f16_e32 v54, v65, v64
	v_sub_f16_e32 v55, v64, v66
	v_mul_f16_e32 v59, 0xb846, v59
	v_mul_f16_e32 v60, 0xb846, v60
	;; [unrolled: 1-line block ×3, first 2 shown]
	v_fma_f16 v52, v51, s16, -v52
	v_fma_f16 v51, v51, s12, -v53
	v_mul_f16_e32 v53, 0x2b26, v56
	v_fma_f16 v58, v67, s15, v58
	v_mul_f16_e32 v55, 0x3a52, v55
	v_mul_f16_e32 v61, 0xbb00, v44
	v_fma_f16 v62, v48, s17, v62
	v_fma_f16 v48, v48, s13, v60
	v_fma_f16 v53, v54, s12, -v53
	v_fma_f16 v44, v44, s21, -v59
	;; [unrolled: 1-line block ×3, first 2 shown]
	v_fma_f16 v61, v47, s17, v61
	v_fma_f16 v47, v47, s13, v59
	v_fma_f16 v64, v56, s14, v55
	v_fma_f16 v48, v43, s22, v48
	v_fma_f16 v62, v43, s22, v62
	v_add_f16_e32 v51, v51, v57
	v_add_f16_e32 v53, v53, v58
	v_fma_f16 v44, v45, s22, v44
	v_fma_f16 v43, v43, s22, v46
	v_add_f16_e32 v63, v63, v57
	v_add_f16_e32 v64, v64, v58
	v_fma_f16 v47, v45, s22, v47
	v_fma_f16 v55, v54, s16, -v55
	v_fma_f16 v61, v45, s22, v61
	v_sub_f16_e32 v45, v51, v43
	v_add_f16_e32 v43, v43, v51
	v_add_f16_e32 v46, v44, v53
	v_sub_f16_e32 v44, v53, v44
	v_add_f16_e32 v65, v48, v63
	v_sub_f16_e32 v66, v64, v47
	v_add_f16_e32 v52, v52, v57
	v_add_f16_e32 v55, v55, v58
	v_pack_b32_f16 v45, v45, v46
	v_pack_b32_f16 v43, v43, v44
	;; [unrolled: 1-line block ×3, first 2 shown]
	v_add_f16_e32 v66, v62, v52
	v_sub_f16_e32 v67, v55, v61
	ds_write2_b32 v33, v45, v43 offset0:106 offset1:155
	v_sub_f16_e32 v43, v52, v62
	v_add_f16_e32 v44, v61, v55
	v_sub_f16_e32 v45, v63, v48
	v_add_f16_e32 v46, v47, v64
	v_pack_b32_f16 v66, v66, v67
	v_pack_b32_f16 v43, v43, v44
	;; [unrolled: 1-line block ×3, first 2 shown]
	ds_write2_b32 v36, v65, v66 offset0:136 offset1:185
	ds_write2_b32 v30, v43, v44 offset0:76 offset1:125
	s_waitcnt lgkmcnt(0)
	; wave barrier
	s_waitcnt lgkmcnt(0)
	global_load_dword v43, v[49:50], off offset:1344
	global_load_dword v44, v[49:50], off offset:1540
	;; [unrolled: 1-line block ×6, first 2 shown]
	ds_read2_b32 v[51:52], v36 offset0:38 offset1:87
	global_load_dword v49, v[49:50], off offset:2520
	ds_read2_b32 v[53:54], v36 offset0:136 offset1:185
	s_waitcnt lgkmcnt(1)
	v_lshrrev_b32_e32 v55, 16, v52
	s_waitcnt lgkmcnt(0)
	v_lshrrev_b32_e32 v57, 16, v53
	s_waitcnt vmcnt(6)
	v_mul_f16_sdwa v50, v52, v43 dst_sel:DWORD dst_unused:UNUSED_PAD src0_sel:DWORD src1_sel:WORD_1
	v_fma_f16 v50, v55, v43, v50
	v_mul_f16_sdwa v55, v55, v43 dst_sel:DWORD dst_unused:UNUSED_PAD src0_sel:DWORD src1_sel:WORD_1
	v_fma_f16 v52, v52, v43, -v55
	ds_read2_b32 v[55:56], v32 offset1:49
	s_waitcnt vmcnt(5)
	v_mul_f16_sdwa v58, v53, v44 dst_sel:DWORD dst_unused:UNUSED_PAD src0_sel:DWORD src1_sel:WORD_1
	v_fma_f16 v61, v57, v44, v58
	v_mul_f16_sdwa v57, v57, v44 dst_sel:DWORD dst_unused:UNUSED_PAD src0_sel:DWORD src1_sel:WORD_1
	v_fma_f16 v53, v53, v44, -v57
	s_waitcnt lgkmcnt(0)
	v_sub_f16_e32 v62, v56, v53
	v_lshrrev_b32_e32 v53, 16, v55
	v_sub_f16_e32 v52, v55, v52
	v_sub_f16_e32 v50, v53, v50
	v_lshrrev_b32_e32 v63, 16, v56
	v_fma_f16 v55, v55, 2.0, -v52
	v_fma_f16 v53, v53, 2.0, -v50
	v_pack_b32_f16 v50, v52, v50
	v_fma_f16 v64, v56, 2.0, -v62
	v_pack_b32_f16 v65, v55, v53
	ds_read2_b32 v[52:53], v32 offset0:98 offset1:147
	ds_read2_b32 v[55:56], v33 offset0:106 offset1:155
	;; [unrolled: 1-line block ×4, first 2 shown]
	ds_write_b32 v32, v50 offset:1372
	v_sub_f16_e32 v50, v63, v61
	v_fma_f16 v61, v63, 2.0, -v50
	v_pack_b32_f16 v61, v64, v61
	ds_write2_b32 v32, v65, v61 offset1:49
	v_lshrrev_b32_e32 v61, 16, v54
	s_waitcnt vmcnt(4)
	v_mul_f16_sdwa v63, v61, v45 dst_sel:DWORD dst_unused:UNUSED_PAD src0_sel:DWORD src1_sel:WORD_1
	v_fma_f16 v63, v54, v45, -v63
	v_mul_f16_sdwa v54, v54, v45 dst_sel:DWORD dst_unused:UNUSED_PAD src0_sel:DWORD src1_sel:WORD_1
	v_fma_f16 v54, v61, v45, v54
	v_pack_b32_f16 v50, v62, v50
	s_waitcnt lgkmcnt(5)
	v_lshrrev_b32_e32 v62, 16, v52
	v_sub_f16_e32 v61, v52, v63
	v_sub_f16_e32 v54, v62, v54
	v_pack_b32_f16 v63, v61, v54
	ds_write2_b32 v36, v50, v63 offset0:136 offset1:185
	v_fma_f16 v50, v62, 2.0, -v54
	s_waitcnt lgkmcnt(5)
	v_lshrrev_b32_e32 v54, 16, v55
	s_waitcnt vmcnt(3)
	v_mul_f16_sdwa v62, v55, v46 dst_sel:DWORD dst_unused:UNUSED_PAD src0_sel:DWORD src1_sel:WORD_1
	v_fma_f16 v62, v54, v46, v62
	v_mul_f16_sdwa v54, v54, v46 dst_sel:DWORD dst_unused:UNUSED_PAD src0_sel:DWORD src1_sel:WORD_1
	v_fma_f16 v54, v55, v46, -v54
	v_fma_f16 v52, v52, 2.0, -v61
	v_lshrrev_b32_e32 v55, 16, v53
	v_sub_f16_e32 v54, v53, v54
	v_pack_b32_f16 v50, v52, v50
	v_sub_f16_e32 v52, v55, v62
	v_fma_f16 v53, v53, 2.0, -v54
	v_fma_f16 v55, v55, 2.0, -v52
	v_pack_b32_f16 v53, v53, v55
	ds_write2_b32 v32, v50, v53 offset0:98 offset1:147
	v_lshrrev_b32_e32 v50, 16, v56
	s_waitcnt vmcnt(2)
	v_mul_f16_sdwa v53, v50, v47 dst_sel:DWORD dst_unused:UNUSED_PAD src0_sel:DWORD src1_sel:WORD_1
	v_mul_f16_sdwa v55, v56, v47 dst_sel:DWORD dst_unused:UNUSED_PAD src0_sel:DWORD src1_sel:WORD_1
	v_fma_f16 v53, v56, v47, -v53
	v_fma_f16 v50, v50, v47, v55
	v_pack_b32_f16 v52, v54, v52
	s_waitcnt lgkmcnt(5)
	v_lshrrev_b32_e32 v54, 16, v57
	v_sub_f16_e32 v53, v57, v53
	v_sub_f16_e32 v50, v54, v50
	v_pack_b32_f16 v55, v53, v50
	ds_write2_b32 v33, v52, v55 offset0:106 offset1:155
	v_fma_f16 v50, v54, 2.0, -v50
	s_waitcnt lgkmcnt(5)
	v_lshrrev_b32_e32 v52, 16, v59
	s_waitcnt vmcnt(1)
	v_mul_f16_sdwa v54, v59, v48 dst_sel:DWORD dst_unused:UNUSED_PAD src0_sel:DWORD src1_sel:WORD_1
	v_fma_f16 v54, v52, v48, v54
	v_mul_f16_sdwa v52, v52, v48 dst_sel:DWORD dst_unused:UNUSED_PAD src0_sel:DWORD src1_sel:WORD_1
	v_fma_f16 v52, v59, v48, -v52
	v_fma_f16 v53, v57, 2.0, -v53
	v_lshrrev_b32_e32 v55, 16, v58
	v_sub_f16_e32 v52, v58, v52
	v_pack_b32_f16 v50, v53, v50
	v_sub_f16_e32 v53, v55, v54
	v_fma_f16 v56, v58, 2.0, -v52
	v_fma_f16 v54, v55, 2.0, -v53
	v_pack_b32_f16 v54, v56, v54
	ds_write2_b32 v32, v50, v54 offset0:196 offset1:245
	v_lshrrev_b32_e32 v50, 16, v60
	s_waitcnt vmcnt(0)
	v_mul_f16_sdwa v54, v50, v49 dst_sel:DWORD dst_unused:UNUSED_PAD src0_sel:DWORD src1_sel:WORD_1
	v_mul_f16_sdwa v55, v60, v49 dst_sel:DWORD dst_unused:UNUSED_PAD src0_sel:DWORD src1_sel:WORD_1
	v_fma_f16 v54, v60, v49, -v54
	v_fma_f16 v50, v50, v49, v55
	v_lshrrev_b32_e32 v55, 16, v51
	v_sub_f16_e32 v54, v51, v54
	v_sub_f16_e32 v50, v55, v50
	v_fma_f16 v51, v51, 2.0, -v54
	v_pack_b32_f16 v52, v52, v53
	v_pack_b32_f16 v53, v54, v50
	v_fma_f16 v50, v55, 2.0, -v50
	v_pack_b32_f16 v50, v51, v50
	ds_write2_b32 v30, v52, v53 offset0:76 offset1:125
	ds_write_b32 v32, v50 offset:1176
	s_waitcnt lgkmcnt(0)
	; wave barrier
	s_waitcnt lgkmcnt(0)
	global_load_dword v52, v32, s[0:1] offset:2744
	global_load_dword v56, v32, s[6:7] offset:1176
	global_load_dword v57, v32, s[6:7] offset:1372
	global_load_dword v58, v32, s[6:7] offset:1568
	global_load_dword v59, v32, s[6:7] offset:980
	global_load_dword v60, v32, s[6:7] offset:784
	global_load_dword v61, v32, s[6:7] offset:196
	global_load_dword v62, v32, s[6:7] offset:392
	global_load_dword v63, v32, s[6:7] offset:588
	global_load_dword v64, v32, s[6:7] offset:1764
	global_load_dword v65, v32, s[6:7] offset:1960
	global_load_dword v67, v32, s[6:7] offset:2156
	global_load_dword v68, v32, s[6:7] offset:2352
	global_load_dword v66, v32, s[6:7] offset:2548
	ds_read2_b32 v[50:51], v32 offset1:49
	s_mov_b32 s0, 0xbb00
	s_mov_b32 s1, 0xb70e
	s_movk_i32 s6, 0x1ff
	s_movk_i32 s7, 0xffe
	s_waitcnt lgkmcnt(0)
	v_lshrrev_b32_e32 v53, 16, v50
	s_waitcnt vmcnt(13)
	v_mul_f16_sdwa v54, v50, v52 dst_sel:DWORD dst_unused:UNUSED_PAD src0_sel:DWORD src1_sel:WORD_1
	v_fma_f16 v54, v53, v52, v54
	v_mul_f16_sdwa v53, v53, v52 dst_sel:DWORD dst_unused:UNUSED_PAD src0_sel:DWORD src1_sel:WORD_1
	v_fma_f16 v50, v50, v52, -v53
	v_pack_b32_f16 v50, v50, v54
	ds_write_b32 v32, v50
	ds_read2_b32 v[52:53], v36 offset0:38 offset1:87
	ds_read2_b32 v[54:55], v32 offset0:196 offset1:245
	s_waitcnt lgkmcnt(1)
	v_lshrrev_b32_e32 v50, 16, v52
	s_waitcnt vmcnt(12)
	v_mul_f16_sdwa v69, v52, v56 dst_sel:DWORD dst_unused:UNUSED_PAD src0_sel:DWORD src1_sel:WORD_1
	v_fma_f16 v69, v50, v56, v69
	v_mul_f16_sdwa v50, v50, v56 dst_sel:DWORD dst_unused:UNUSED_PAD src0_sel:DWORD src1_sel:WORD_1
	v_fma_f16 v50, v52, v56, -v50
	s_waitcnt lgkmcnt(0)
	v_lshrrev_b32_e32 v52, 16, v55
	s_waitcnt vmcnt(9)
	v_mul_f16_sdwa v56, v55, v59 dst_sel:DWORD dst_unused:UNUSED_PAD src0_sel:DWORD src1_sel:WORD_1
	v_fma_f16 v56, v52, v59, v56
	v_mul_f16_sdwa v52, v52, v59 dst_sel:DWORD dst_unused:UNUSED_PAD src0_sel:DWORD src1_sel:WORD_1
	v_fma_f16 v52, v55, v59, -v52
	v_pack_b32_f16 v50, v50, v69
	v_pack_b32_f16 v52, v52, v56
	v_add_u32_e32 v55, 0x200, v32
	ds_write2_b32 v55, v52, v50 offset0:117 offset1:166
	v_lshrrev_b32_e32 v50, 16, v54
	s_waitcnt vmcnt(8)
	v_mul_f16_sdwa v52, v50, v60 dst_sel:DWORD dst_unused:UNUSED_PAD src0_sel:DWORD src1_sel:WORD_1
	v_fma_f16 v52, v54, v60, -v52
	v_mul_f16_sdwa v54, v54, v60 dst_sel:DWORD dst_unused:UNUSED_PAD src0_sel:DWORD src1_sel:WORD_1
	v_fma_f16 v50, v50, v60, v54
	ds_read2_b32 v[54:55], v32 offset0:98 offset1:147
	v_lshrrev_b32_e32 v56, 16, v51
	s_waitcnt vmcnt(7)
	v_mul_f16_sdwa v59, v56, v61 dst_sel:DWORD dst_unused:UNUSED_PAD src0_sel:DWORD src1_sel:WORD_1
	v_fma_f16 v59, v51, v61, -v59
	v_mul_f16_sdwa v51, v51, v61 dst_sel:DWORD dst_unused:UNUSED_PAD src0_sel:DWORD src1_sel:WORD_1
	v_fma_f16 v51, v56, v61, v51
	s_waitcnt lgkmcnt(0)
	v_lshrrev_b32_e32 v56, 16, v54
	s_waitcnt vmcnt(6)
	v_mul_f16_sdwa v60, v54, v62 dst_sel:DWORD dst_unused:UNUSED_PAD src0_sel:DWORD src1_sel:WORD_1
	v_fma_f16 v60, v56, v62, v60
	v_mul_f16_sdwa v56, v56, v62 dst_sel:DWORD dst_unused:UNUSED_PAD src0_sel:DWORD src1_sel:WORD_1
	v_fma_f16 v54, v54, v62, -v56
	v_pack_b32_f16 v54, v54, v60
	v_pack_b32_f16 v51, v59, v51
	ds_write2_b32 v32, v51, v54 offset0:49 offset1:98
	v_lshrrev_b32_e32 v51, 16, v55
	s_waitcnt vmcnt(5)
	v_mul_f16_sdwa v54, v51, v63 dst_sel:DWORD dst_unused:UNUSED_PAD src0_sel:DWORD src1_sel:WORD_1
	v_fma_f16 v54, v55, v63, -v54
	v_mul_f16_sdwa v55, v55, v63 dst_sel:DWORD dst_unused:UNUSED_PAD src0_sel:DWORD src1_sel:WORD_1
	v_fma_f16 v51, v51, v63, v55
	v_pack_b32_f16 v50, v52, v50
	v_pack_b32_f16 v51, v54, v51
	ds_write2_b32 v32, v51, v50 offset0:147 offset1:196
	ds_read2_b32 v[50:51], v36 offset0:136 offset1:185
	v_lshrrev_b32_e32 v52, 16, v53
	v_mul_f16_sdwa v54, v52, v57 dst_sel:DWORD dst_unused:UNUSED_PAD src0_sel:DWORD src1_sel:WORD_1
	v_fma_f16 v54, v53, v57, -v54
	v_mul_f16_sdwa v53, v53, v57 dst_sel:DWORD dst_unused:UNUSED_PAD src0_sel:DWORD src1_sel:WORD_1
	v_fma_f16 v52, v52, v57, v53
	s_waitcnt lgkmcnt(0)
	v_lshrrev_b32_e32 v53, 16, v50
	v_mul_f16_sdwa v55, v50, v58 dst_sel:DWORD dst_unused:UNUSED_PAD src0_sel:DWORD src1_sel:WORD_1
	v_fma_f16 v55, v53, v58, v55
	v_mul_f16_sdwa v53, v53, v58 dst_sel:DWORD dst_unused:UNUSED_PAD src0_sel:DWORD src1_sel:WORD_1
	v_fma_f16 v50, v50, v58, -v53
	v_pack_b32_f16 v50, v50, v55
	v_pack_b32_f16 v52, v54, v52
	ds_write2_b32 v36, v52, v50 offset0:87 offset1:136
	ds_read2_b32 v[52:53], v33 offset0:106 offset1:155
	v_lshrrev_b32_e32 v50, 16, v51
	s_waitcnt vmcnt(4)
	v_mul_f16_sdwa v54, v50, v64 dst_sel:DWORD dst_unused:UNUSED_PAD src0_sel:DWORD src1_sel:WORD_1
	v_fma_f16 v54, v51, v64, -v54
	v_mul_f16_sdwa v51, v51, v64 dst_sel:DWORD dst_unused:UNUSED_PAD src0_sel:DWORD src1_sel:WORD_1
	v_fma_f16 v50, v50, v64, v51
	s_waitcnt lgkmcnt(0)
	v_lshrrev_b32_e32 v51, 16, v52
	s_waitcnt vmcnt(3)
	v_mul_f16_sdwa v55, v52, v65 dst_sel:DWORD dst_unused:UNUSED_PAD src0_sel:DWORD src1_sel:WORD_1
	v_fma_f16 v55, v51, v65, v55
	v_mul_f16_sdwa v51, v51, v65 dst_sel:DWORD dst_unused:UNUSED_PAD src0_sel:DWORD src1_sel:WORD_1
	v_fma_f16 v51, v52, v65, -v51
	v_pack_b32_f16 v51, v51, v55
	v_pack_b32_f16 v50, v54, v50
	ds_write2_b32 v36, v50, v51 offset0:185 offset1:234
	ds_read2_b32 v[50:51], v30 offset0:76 offset1:125
	v_lshrrev_b32_e32 v52, 16, v53
	s_waitcnt vmcnt(2)
	v_mul_f16_sdwa v54, v52, v67 dst_sel:DWORD dst_unused:UNUSED_PAD src0_sel:DWORD src1_sel:WORD_1
	v_fma_f16 v54, v53, v67, -v54
	v_mul_f16_sdwa v53, v53, v67 dst_sel:DWORD dst_unused:UNUSED_PAD src0_sel:DWORD src1_sel:WORD_1
	v_fma_f16 v52, v52, v67, v53
	s_waitcnt lgkmcnt(0)
	v_lshrrev_b32_e32 v53, 16, v50
	s_waitcnt vmcnt(1)
	v_mul_f16_sdwa v55, v50, v68 dst_sel:DWORD dst_unused:UNUSED_PAD src0_sel:DWORD src1_sel:WORD_1
	v_fma_f16 v55, v53, v68, v55
	v_mul_f16_sdwa v53, v53, v68 dst_sel:DWORD dst_unused:UNUSED_PAD src0_sel:DWORD src1_sel:WORD_1
	v_fma_f16 v50, v50, v68, -v53
	v_pack_b32_f16 v50, v50, v55
	v_pack_b32_f16 v52, v54, v52
	ds_write2_b32 v30, v52, v50 offset0:27 offset1:76
	v_lshrrev_b32_e32 v50, 16, v51
	s_waitcnt vmcnt(0)
	v_mul_f16_sdwa v52, v50, v66 dst_sel:DWORD dst_unused:UNUSED_PAD src0_sel:DWORD src1_sel:WORD_1
	v_fma_f16 v52, v51, v66, -v52
	v_mul_f16_sdwa v51, v51, v66 dst_sel:DWORD dst_unused:UNUSED_PAD src0_sel:DWORD src1_sel:WORD_1
	v_fma_f16 v50, v50, v66, v51
	v_pack_b32_f16 v50, v52, v50
	ds_write_b32 v32, v50 offset:2548
	s_waitcnt lgkmcnt(0)
	; wave barrier
	s_waitcnt lgkmcnt(0)
	ds_read2_b32 v[50:51], v32 offset0:98 offset1:147
	ds_read2_b32 v[52:53], v30 offset0:76 offset1:125
	;; [unrolled: 1-line block ×4, first 2 shown]
	s_waitcnt lgkmcnt(2)
	v_pk_add_f16 v58, v51, v53
	v_pk_add_f16 v59, v50, v52
	v_pk_add_f16 v60, v50, v52 neg_lo:[0,1] neg_hi:[0,1]
	v_pk_add_f16 v61, v51, v53 neg_lo:[0,1] neg_hi:[0,1]
	ds_read2_b32 v[50:51], v36 offset0:38 offset1:87
	ds_read2_b32 v[52:53], v36 offset0:136 offset1:185
	s_waitcnt lgkmcnt(2)
	v_pk_add_f16 v63, v54, v56
	v_pk_add_f16 v62, v55, v57
	v_pk_add_f16 v54, v54, v56 neg_lo:[0,1] neg_hi:[0,1]
	v_pk_add_f16 v55, v55, v57 neg_lo:[0,1] neg_hi:[0,1]
	s_waitcnt lgkmcnt(0)
	v_pk_add_f16 v57, v50, v52
	v_pk_add_f16 v52, v52, v50 neg_lo:[0,1] neg_hi:[0,1]
	v_pk_add_f16 v50, v63, v59
	v_pk_add_f16 v64, v57, v50
	;; [unrolled: 1-line block ×4, first 2 shown]
	v_pk_add_f16 v53, v53, v51 neg_lo:[0,1] neg_hi:[0,1]
	v_pk_add_f16 v66, v50, v60
	ds_read2_b32 v[50:51], v32 offset1:49
	v_pk_add_f16 v65, v63, v59 neg_lo:[0,1] neg_hi:[0,1]
	v_pk_add_f16 v59, v59, v57 neg_lo:[0,1] neg_hi:[0,1]
	;; [unrolled: 1-line block ×4, first 2 shown]
	v_pk_mul_f16 v59, v59, s19 op_sel_hi:[1,0]
	v_pk_mul_f16 v65, v65, s12 op_sel_hi:[1,0]
	;; [unrolled: 1-line block ×3, first 2 shown]
	s_waitcnt lgkmcnt(0)
	v_pk_add_f16 v50, v50, v64
	v_pk_add_f16 v57, v57, v63 neg_lo:[0,1] neg_hi:[0,1]
	v_pk_add_f16 v52, v52, v54 neg_lo:[0,1] neg_hi:[0,1]
	v_pk_fma_f16 v64, v64, s20, v50 op_sel_hi:[1,0,1] neg_lo:[1,0,0] neg_hi:[1,0,0]
	v_pk_add_f16 v68, v59, v65 op_sel:[1,1] op_sel_hi:[0,0] neg_lo:[1,1] neg_hi:[1,1]
	v_pk_fma_f16 v69, v67, s17, v60 op_sel_hi:[1,0,1] neg_lo:[1,0,1] neg_hi:[1,0,1]
	v_pk_fma_f16 v54, v57, s14, v65 op_sel_hi:[1,0,1] neg_lo:[1,0,0] neg_hi:[1,0,0]
	;; [unrolled: 1-line block ×3, first 2 shown]
	v_pk_add_f16 v68, v68, v64 op_sel:[0,1] op_sel_hi:[1,0]
	v_pk_fma_f16 v69, v66, s1, v69 op_sel_hi:[1,0,1]
	v_pk_add_f16 v54, v54, v64
	v_pk_fma_f16 v60, v66, s1, v60 op_sel_hi:[1,0,1]
	v_pk_add_f16 v70, v68, v69
	v_pk_add_f16 v68, v68, v69 neg_lo:[0,1] neg_hi:[0,1]
	v_pk_add_f16 v63, v54, v60 op_sel:[0,1] op_sel_hi:[1,0] neg_lo:[0,1] neg_hi:[0,1]
	v_pk_add_f16 v54, v54, v60 op_sel:[0,1] op_sel_hi:[1,0]
	v_alignbit_b32 v60, v68, v70, 16
	v_bfi_b32 v65, s18, v63, v54
	s_waitcnt lgkmcnt(0)
	; wave barrier
	ds_write2_b32 v40, v60, v65 offset0:2 offset1:3
	v_bfi_b32 v54, s18, v54, v63
	v_alignbit_b32 v60, v70, v68, 16
	ds_write2_b32 v40, v54, v60 offset0:4 offset1:5
	v_pk_fma_f16 v54, v57, s14, v59 op_sel_hi:[1,0,1]
	v_pk_mul_f16 v57, v67, s17 op_sel_hi:[1,0]
	v_pk_fma_f16 v52, v52, s2, v57 op_sel_hi:[1,0,1]
	v_pk_add_f16 v54, v54, v64
	v_pk_fma_f16 v52, v66, s1, v52 op_sel_hi:[1,0,1]
	v_pk_add_f16 v57, v54, v52 op_sel:[0,1] op_sel_hi:[1,0]
	v_pk_add_f16 v52, v54, v52 op_sel:[0,1] op_sel_hi:[1,0] neg_lo:[0,1] neg_hi:[0,1]
	v_bfi_b32 v54, s18, v57, v52
	ds_write2_b32 v40, v50, v54 offset1:1
	v_bfi_b32 v50, s18, v52, v57
	ds_write_b32 v40, v50 offset:24
	v_pk_add_f16 v40, v62, v58
	v_pk_add_f16 v40, v56, v40
	;; [unrolled: 1-line block ×3, first 2 shown]
	v_pk_add_f16 v51, v62, v58 neg_lo:[0,1] neg_hi:[0,1]
	v_pk_add_f16 v52, v58, v56 neg_lo:[0,1] neg_hi:[0,1]
	;; [unrolled: 1-line block ×3, first 2 shown]
	v_pk_add_f16 v54, v53, v55
	v_pk_add_f16 v57, v61, v53 neg_lo:[0,1] neg_hi:[0,1]
	v_pk_mul_f16 v52, v52, s19 op_sel_hi:[1,0]
	v_pk_mul_f16 v51, v51, s12 op_sel_hi:[1,0]
	;; [unrolled: 1-line block ×3, first 2 shown]
	v_pk_add_f16 v56, v56, v62 neg_lo:[0,1] neg_hi:[0,1]
	v_pk_add_f16 v53, v53, v55 neg_lo:[0,1] neg_hi:[0,1]
	v_pk_add_f16 v54, v54, v61
	v_pk_fma_f16 v40, v40, s20, v50 op_sel_hi:[1,0,1] neg_lo:[1,0,0] neg_hi:[1,0,0]
	v_pk_add_f16 v59, v52, v51 op_sel:[1,1] op_sel_hi:[0,0] neg_lo:[1,1] neg_hi:[1,1]
	v_pk_fma_f16 v60, v57, s17, v58 op_sel_hi:[1,0,1] neg_lo:[1,0,1] neg_hi:[1,0,1]
	v_pk_fma_f16 v51, v56, s14, v51 op_sel_hi:[1,0,1] neg_lo:[1,0,0] neg_hi:[1,0,0]
	;; [unrolled: 1-line block ×3, first 2 shown]
	v_pk_add_f16 v59, v59, v40 op_sel:[0,1] op_sel_hi:[1,0]
	v_pk_fma_f16 v60, v54, s1, v60 op_sel_hi:[1,0,1]
	v_pk_add_f16 v51, v51, v40
	v_pk_fma_f16 v55, v54, s1, v55 op_sel_hi:[1,0,1]
	v_pk_add_f16 v61, v59, v60
	v_pk_add_f16 v59, v59, v60 neg_lo:[0,1] neg_hi:[0,1]
	v_pk_add_f16 v58, v51, v55 op_sel:[0,1] op_sel_hi:[1,0] neg_lo:[0,1] neg_hi:[0,1]
	v_pk_add_f16 v51, v51, v55 op_sel:[0,1] op_sel_hi:[1,0]
	v_alignbit_b32 v55, v59, v61, 16
	v_bfi_b32 v60, s18, v58, v51
	ds_write2_b32 v41, v55, v60 offset0:2 offset1:3
	v_bfi_b32 v51, s18, v51, v58
	v_alignbit_b32 v55, v61, v59, 16
	ds_write2_b32 v41, v51, v55 offset0:4 offset1:5
	v_pk_fma_f16 v51, v56, s14, v52 op_sel_hi:[1,0,1]
	v_pk_mul_f16 v52, v57, s17 op_sel_hi:[1,0]
	v_pk_fma_f16 v52, v53, s2, v52 op_sel_hi:[1,0,1]
	v_pk_add_f16 v40, v51, v40
	v_pk_fma_f16 v51, v54, s1, v52 op_sel_hi:[1,0,1]
	v_pk_add_f16 v52, v40, v51 op_sel:[0,1] op_sel_hi:[1,0]
	v_pk_add_f16 v40, v40, v51 op_sel:[0,1] op_sel_hi:[1,0] neg_lo:[0,1] neg_hi:[0,1]
	v_bfi_b32 v51, s18, v52, v40
	v_bfi_b32 v40, s18, v40, v52
	ds_write2_b32 v41, v50, v51 offset1:1
	ds_write_b32 v41, v40 offset:24
	s_waitcnt lgkmcnt(0)
	; wave barrier
	s_waitcnt lgkmcnt(0)
	ds_read2_b32 v[40:41], v32 offset0:98 offset1:147
	ds_read2_b32 v[50:51], v32 offset0:196 offset1:245
	s_mov_b32 s2, 0x515a4f1d
	s_mov_b32 s3, 0x3f57e225
	s_waitcnt lgkmcnt(1)
	v_lshrrev_b32_e32 v52, 16, v40
	v_mul_f16_sdwa v53, v0, v40 dst_sel:DWORD dst_unused:UNUSED_PAD src0_sel:WORD_1 src1_sel:DWORD
	v_fma_f16 v54, v0, v52, -v53
	v_mul_f16_sdwa v52, v0, v52 dst_sel:DWORD dst_unused:UNUSED_PAD src0_sel:WORD_1 src1_sel:DWORD
	v_fma_f16 v40, v0, v40, v52
	s_waitcnt lgkmcnt(0)
	v_lshrrev_b32_e32 v0, 16, v50
	ds_read2_b32 v[52:53], v36 offset0:38 offset1:87
	v_mul_f16_sdwa v55, v1, v50 dst_sel:DWORD dst_unused:UNUSED_PAD src0_sel:WORD_1 src1_sel:DWORD
	v_fma_f16 v55, v1, v0, -v55
	v_mul_f16_sdwa v0, v1, v0 dst_sel:DWORD dst_unused:UNUSED_PAD src0_sel:WORD_1 src1_sel:DWORD
	v_fma_f16 v50, v1, v50, v0
	ds_read2_b32 v[0:1], v36 offset0:136 offset1:185
	s_waitcnt lgkmcnt(1)
	v_lshrrev_b32_e32 v56, 16, v52
	v_mul_f16_sdwa v57, v2, v52 dst_sel:DWORD dst_unused:UNUSED_PAD src0_sel:WORD_1 src1_sel:DWORD
	v_fma_f16 v57, v2, v56, -v57
	v_mul_f16_sdwa v56, v2, v56 dst_sel:DWORD dst_unused:UNUSED_PAD src0_sel:WORD_1 src1_sel:DWORD
	v_fma_f16 v52, v2, v52, v56
	s_waitcnt lgkmcnt(0)
	v_lshrrev_b32_e32 v2, 16, v0
	v_mul_f16_sdwa v56, v3, v0 dst_sel:DWORD dst_unused:UNUSED_PAD src0_sel:WORD_1 src1_sel:DWORD
	v_fma_f16 v56, v3, v2, -v56
	v_mul_f16_sdwa v2, v3, v2 dst_sel:DWORD dst_unused:UNUSED_PAD src0_sel:WORD_1 src1_sel:DWORD
	v_fma_f16 v58, v3, v0, v2
	v_lshrrev_b32_e32 v0, 16, v41
	v_mul_f16_sdwa v2, v4, v0 dst_sel:DWORD dst_unused:UNUSED_PAD src0_sel:WORD_1 src1_sel:DWORD
	v_fma_f16 v59, v4, v41, v2
	v_mul_f16_sdwa v2, v4, v41 dst_sel:DWORD dst_unused:UNUSED_PAD src0_sel:WORD_1 src1_sel:DWORD
	v_fma_f16 v4, v4, v0, -v2
	v_lshrrev_b32_e32 v0, 16, v51
	v_mul_f16_sdwa v2, v5, v0 dst_sel:DWORD dst_unused:UNUSED_PAD src0_sel:WORD_1 src1_sel:DWORD
	v_fma_f16 v41, v5, v51, v2
	v_mul_f16_sdwa v2, v5, v51 dst_sel:DWORD dst_unused:UNUSED_PAD src0_sel:WORD_1 src1_sel:DWORD
	v_fma_f16 v5, v5, v0, -v2
	;; [unrolled: 5-line block ×3, first 2 shown]
	v_lshrrev_b32_e32 v0, 16, v1
	ds_read2_b32 v[2:3], v33 offset0:106 offset1:155
	v_mul_f16_sdwa v53, v7, v0 dst_sel:DWORD dst_unused:UNUSED_PAD src0_sel:WORD_1 src1_sel:DWORD
	v_fma_f16 v53, v7, v1, v53
	v_mul_f16_sdwa v1, v7, v1 dst_sel:DWORD dst_unused:UNUSED_PAD src0_sel:WORD_1 src1_sel:DWORD
	v_fma_f16 v7, v7, v0, -v1
	ds_read2_b32 v[0:1], v30 offset0:76 offset1:125
	s_waitcnt lgkmcnt(1)
	v_lshrrev_b32_e32 v60, 16, v2
	v_mul_f16_sdwa v61, v13, v2 dst_sel:DWORD dst_unused:UNUSED_PAD src0_sel:WORD_1 src1_sel:DWORD
	v_fma_f16 v61, v13, v60, -v61
	v_mul_f16_sdwa v60, v13, v60 dst_sel:DWORD dst_unused:UNUSED_PAD src0_sel:WORD_1 src1_sel:DWORD
	v_fma_f16 v2, v13, v2, v60
	s_waitcnt lgkmcnt(0)
	v_lshrrev_b32_e32 v13, 16, v0
	v_mul_f16_sdwa v60, v14, v0 dst_sel:DWORD dst_unused:UNUSED_PAD src0_sel:WORD_1 src1_sel:DWORD
	v_fma_f16 v60, v14, v13, -v60
	v_mul_f16_sdwa v13, v14, v13 dst_sel:DWORD dst_unused:UNUSED_PAD src0_sel:WORD_1 src1_sel:DWORD
	v_fma_f16 v0, v14, v0, v13
	v_lshrrev_b32_e32 v13, 16, v3
	v_mul_f16_sdwa v14, v15, v13 dst_sel:DWORD dst_unused:UNUSED_PAD src0_sel:WORD_1 src1_sel:DWORD
	v_fma_f16 v14, v15, v3, v14
	v_mul_f16_sdwa v3, v15, v3 dst_sel:DWORD dst_unused:UNUSED_PAD src0_sel:WORD_1 src1_sel:DWORD
	v_fma_f16 v3, v15, v13, -v3
	v_lshrrev_b32_e32 v13, 16, v1
	v_mul_f16_sdwa v15, v16, v13 dst_sel:DWORD dst_unused:UNUSED_PAD src0_sel:WORD_1 src1_sel:DWORD
	v_fma_f16 v15, v16, v1, v15
	v_mul_f16_sdwa v1, v16, v1 dst_sel:DWORD dst_unused:UNUSED_PAD src0_sel:WORD_1 src1_sel:DWORD
	v_fma_f16 v13, v16, v13, -v1
	v_add_f16_e32 v16, v40, v0
	v_sub_f16_e32 v40, v40, v0
	ds_read2_b32 v[0:1], v32 offset1:49
	v_add_f16_e32 v62, v54, v60
	v_sub_f16_e32 v54, v54, v60
	v_add_f16_e32 v60, v50, v2
	v_sub_f16_e32 v2, v50, v2
	;; [unrolled: 2-line block ×5, first 2 shown]
	v_add_f16_e32 v57, v60, v16
	v_add_f16_e32 v63, v50, v62
	;; [unrolled: 1-line block ×4, first 2 shown]
	s_waitcnt lgkmcnt(0)
	v_add_f16_e32 v64, v0, v57
	v_add_f16_sdwa v0, v0, v63 dst_sel:DWORD dst_unused:UNUSED_PAD src0_sel:WORD_1 src1_sel:DWORD
	v_fma_f16 v57, v57, s15, v64
	v_fma_f16 v63, v63, s15, v0
	v_pack_b32_f16 v0, v64, v0
	v_sub_f16_e32 v64, v16, v61
	v_sub_f16_e32 v65, v62, v58
	;; [unrolled: 1-line block ×6, first 2 shown]
	v_add_f16_e32 v66, v52, v2
	v_sub_f16_e32 v52, v40, v52
	v_add_f16_e32 v68, v56, v55
	v_sub_f16_e32 v56, v54, v56
	v_mul_f16_e32 v64, 0x3a52, v64
	v_mul_f16_e32 v65, 0x3a52, v65
	;; [unrolled: 1-line block ×4, first 2 shown]
	v_add_f16_e32 v66, v66, v40
	v_add_f16_e32 v68, v68, v54
	v_fma_f16 v70, v61, s14, v64
	v_fma_f16 v71, v58, s14, v65
	;; [unrolled: 1-line block ×4, first 2 shown]
	v_add_f16_e32 v70, v70, v57
	v_add_f16_e32 v71, v71, v63
	v_fma_f16 v72, v66, s1, v72
	v_fma_f16 v73, v68, s1, v73
	v_add_f16_e32 v74, v73, v70
	v_sub_f16_e32 v75, v71, v72
	v_sub_f16_e32 v2, v2, v40
	v_pack_b32_f16 v74, v74, v75
	v_sub_f16_e32 v40, v55, v54
	v_fma_f16 v55, v2, s0, -v67
	v_mul_f16_e32 v2, 0x3b00, v2
	s_waitcnt lgkmcnt(0)
	; wave barrier
	ds_write2_b32 v39, v0, v74 offset1:7
	v_sub_f16_e32 v0, v60, v16
	v_sub_f16_e32 v16, v50, v62
	v_mul_f16_e32 v50, 0x2b26, v61
	v_mul_f16_e32 v54, 0x2b26, v58
	v_fma_f16 v2, v52, s13, v2
	v_fma_f16 v52, v40, s0, -v69
	v_mul_f16_e32 v40, 0x3b00, v40
	v_fma_f16 v50, v0, s12, -v50
	v_fma_f16 v0, v0, s16, -v64
	;; [unrolled: 1-line block ×4, first 2 shown]
	v_fma_f16 v40, v56, s13, v40
	v_add_f16_e32 v0, v0, v57
	v_add_f16_e32 v16, v16, v63
	v_fma_f16 v2, v66, s1, v2
	v_fma_f16 v40, v68, s1, v40
	v_add_f16_e32 v50, v50, v57
	v_add_f16_e32 v54, v54, v63
	v_fma_f16 v55, v66, s1, v55
	v_fma_f16 v52, v68, s1, v52
	v_add_f16_e32 v56, v40, v0
	v_sub_f16_e32 v57, v16, v2
	v_pack_b32_f16 v56, v56, v57
	v_sub_f16_e32 v57, v50, v52
	v_add_f16_e32 v50, v52, v50
	v_sub_f16_e32 v52, v54, v55
	v_sub_f16_e32 v0, v0, v40
	v_add_f16_e32 v2, v2, v16
	v_pack_b32_f16 v16, v50, v52
	v_pack_b32_f16 v0, v0, v2
	ds_write2_b32 v39, v16, v0 offset0:28 offset1:35
	v_sub_f16_e32 v0, v70, v73
	v_add_f16_e32 v2, v72, v71
	v_pack_b32_f16 v0, v0, v2
	ds_write_b32 v39, v0 offset:168
	v_add_f16_e32 v0, v59, v15
	v_sub_f16_e32 v2, v59, v15
	v_add_f16_e32 v15, v4, v13
	v_sub_f16_e32 v4, v4, v13
	v_add_f16_e32 v13, v41, v14
	v_add_f16_e32 v16, v5, v3
	;; [unrolled: 1-line block ×3, first 2 shown]
	v_sub_f16_e32 v14, v41, v14
	v_sub_f16_e32 v3, v5, v3
	v_add_f16_e32 v5, v51, v53
	v_add_f16_e32 v40, v6, v7
	v_sub_f16_e32 v6, v7, v6
	v_add_f16_e32 v7, v13, v0
	v_add_f16_e32 v41, v16, v15
	v_pack_b32_f16 v57, v57, v58
	v_add_f16_e32 v7, v5, v7
	v_add_f16_e32 v41, v40, v41
	ds_write2_b32 v39, v56, v57 offset0:14 offset1:21
	v_sub_f16_e32 v39, v53, v51
	v_add_f16_e32 v50, v1, v7
	v_add_f16_sdwa v1, v1, v41 dst_sel:DWORD dst_unused:UNUSED_PAD src0_sel:WORD_1 src1_sel:DWORD
	v_fma_f16 v7, v7, s15, v50
	v_fma_f16 v41, v41, s15, v1
	v_pack_b32_f16 v1, v50, v1
	v_sub_f16_e32 v50, v0, v5
	v_sub_f16_e32 v51, v15, v40
	;; [unrolled: 1-line block ×6, first 2 shown]
	v_add_f16_e32 v52, v39, v14
	v_sub_f16_e32 v39, v2, v39
	v_add_f16_e32 v54, v6, v3
	v_sub_f16_e32 v6, v4, v6
	v_mul_f16_e32 v50, 0x3a52, v50
	v_mul_f16_e32 v51, 0x3a52, v51
	;; [unrolled: 1-line block ×4, first 2 shown]
	v_add_f16_e32 v52, v52, v2
	v_add_f16_e32 v54, v54, v4
	v_fma_f16 v56, v5, s14, v50
	v_fma_f16 v57, v40, s14, v51
	;; [unrolled: 1-line block ×4, first 2 shown]
	v_add_f16_e32 v56, v56, v7
	v_add_f16_e32 v57, v57, v41
	v_fma_f16 v58, v52, s1, v58
	v_fma_f16 v59, v54, s1, v59
	v_add_f16_e32 v60, v59, v56
	v_sub_f16_e32 v61, v57, v58
	v_pack_b32_f16 v60, v60, v61
	v_sub_f16_e32 v2, v14, v2
	v_sub_f16_e32 v3, v3, v4
	ds_write2_b32 v42, v1, v60 offset1:7
	v_sub_f16_e32 v0, v13, v0
	v_sub_f16_e32 v1, v16, v15
	v_mul_f16_e32 v4, 0x2b26, v5
	v_mul_f16_e32 v5, 0x2b26, v40
	v_fma_f16 v13, v2, s0, -v53
	v_mul_f16_e32 v2, 0x3b00, v2
	v_fma_f16 v14, v3, s0, -v55
	;; [unrolled: 2-line block ×3, first 2 shown]
	v_fma_f16 v0, v0, s16, -v50
	v_fma_f16 v5, v1, s12, -v5
	;; [unrolled: 1-line block ×3, first 2 shown]
	v_fma_f16 v2, v39, s13, v2
	v_fma_f16 v3, v6, s13, v3
	v_add_f16_e32 v0, v0, v7
	v_add_f16_e32 v1, v1, v41
	v_fma_f16 v2, v52, s1, v2
	v_fma_f16 v3, v54, s1, v3
	v_add_f16_e32 v4, v4, v7
	v_add_f16_e32 v5, v5, v41
	v_fma_f16 v6, v52, s1, v13
	v_fma_f16 v7, v54, s1, v14
	v_add_f16_e32 v13, v3, v0
	v_sub_f16_e32 v14, v1, v2
	v_pack_b32_f16 v13, v13, v14
	v_sub_f16_e32 v14, v4, v7
	v_add_f16_e32 v15, v6, v5
	v_add_f16_e32 v4, v7, v4
	v_sub_f16_e32 v5, v5, v6
	v_sub_f16_e32 v0, v0, v3
	v_add_f16_e32 v1, v2, v1
	v_pack_b32_f16 v2, v4, v5
	v_pack_b32_f16 v0, v0, v1
	ds_write2_b32 v42, v2, v0 offset0:28 offset1:35
	v_sub_f16_e32 v0, v56, v59
	v_add_f16_e32 v1, v58, v57
	v_pack_b32_f16 v14, v14, v15
	v_pack_b32_f16 v0, v0, v1
	ds_write2_b32 v42, v13, v14 offset0:14 offset1:21
	ds_write_b32 v42, v0 offset:168
	s_waitcnt lgkmcnt(0)
	; wave barrier
	s_waitcnt lgkmcnt(0)
	ds_read2_b32 v[0:1], v32 offset0:98 offset1:147
	s_waitcnt lgkmcnt(0)
	v_lshrrev_b32_e32 v2, 16, v0
	v_mul_f16_sdwa v3, v8, v0 dst_sel:DWORD dst_unused:UNUSED_PAD src0_sel:WORD_1 src1_sel:DWORD
	v_fma_f16 v4, v8, v2, -v3
	v_mul_f16_sdwa v2, v8, v2 dst_sel:DWORD dst_unused:UNUSED_PAD src0_sel:WORD_1 src1_sel:DWORD
	v_fma_f16 v5, v8, v0, v2
	ds_read2_b32 v[2:3], v32 offset0:196 offset1:245
	v_lshrrev_b32_e32 v0, 16, v1
	v_mul_f16_sdwa v6, v8, v0 dst_sel:DWORD dst_unused:UNUSED_PAD src0_sel:WORD_1 src1_sel:DWORD
	v_fma_f16 v6, v8, v1, v6
	v_mul_f16_sdwa v1, v8, v1 dst_sel:DWORD dst_unused:UNUSED_PAD src0_sel:WORD_1 src1_sel:DWORD
	v_fma_f16 v7, v8, v0, -v1
	s_waitcnt lgkmcnt(0)
	v_lshrrev_b32_e32 v0, 16, v2
	v_mul_f16_sdwa v1, v9, v2 dst_sel:DWORD dst_unused:UNUSED_PAD src0_sel:WORD_1 src1_sel:DWORD
	v_fma_f16 v8, v9, v0, -v1
	v_mul_f16_sdwa v0, v9, v0 dst_sel:DWORD dst_unused:UNUSED_PAD src0_sel:WORD_1 src1_sel:DWORD
	v_fma_f16 v13, v9, v2, v0
	ds_read2_b32 v[0:1], v36 offset0:38 offset1:87
	v_lshrrev_b32_e32 v2, 16, v3
	v_mul_f16_sdwa v14, v9, v2 dst_sel:DWORD dst_unused:UNUSED_PAD src0_sel:WORD_1 src1_sel:DWORD
	v_fma_f16 v14, v9, v3, v14
	v_mul_f16_sdwa v3, v9, v3 dst_sel:DWORD dst_unused:UNUSED_PAD src0_sel:WORD_1 src1_sel:DWORD
	v_fma_f16 v9, v9, v2, -v3
	;; [unrolled: 12-line block ×5, first 2 shown]
	s_waitcnt lgkmcnt(0)
	v_lshrrev_b32_e32 v1, 16, v2
	v_mul_f16_sdwa v51, v18, v2 dst_sel:DWORD dst_unused:UNUSED_PAD src0_sel:WORD_1 src1_sel:DWORD
	v_fma_f16 v51, v18, v1, -v51
	v_mul_f16_sdwa v1, v18, v1 dst_sel:DWORD dst_unused:UNUSED_PAD src0_sel:WORD_1 src1_sel:DWORD
	v_fma_f16 v1, v18, v2, v1
	v_lshrrev_b32_e32 v2, 16, v3
	v_mul_f16_sdwa v53, v18, v2 dst_sel:DWORD dst_unused:UNUSED_PAD src0_sel:WORD_1 src1_sel:DWORD
	v_fma_f16 v53, v18, v3, v53
	v_mul_f16_sdwa v3, v18, v3 dst_sel:DWORD dst_unused:UNUSED_PAD src0_sel:WORD_1 src1_sel:DWORD
	v_fma_f16 v2, v18, v2, -v3
	v_add_f16_e32 v3, v5, v1
	v_sub_f16_e32 v5, v5, v1
	v_add_f16_e32 v18, v4, v51
	v_sub_f16_e32 v4, v4, v51
	;; [unrolled: 2-line block ×3, first 2 shown]
	ds_read2_b32 v[0:1], v32 offset1:49
	v_add_f16_e32 v54, v8, v50
	v_sub_f16_e32 v8, v8, v50
	v_add_f16_e32 v50, v16, v41
	v_sub_f16_e32 v16, v41, v16
	;; [unrolled: 2-line block ×3, first 2 shown]
	v_add_f16_e32 v40, v51, v3
	v_add_f16_e32 v55, v54, v18
	;; [unrolled: 1-line block ×4, first 2 shown]
	s_waitcnt lgkmcnt(0)
	v_add_f16_e32 v56, v0, v40
	v_add_f16_sdwa v0, v0, v55 dst_sel:DWORD dst_unused:UNUSED_PAD src0_sel:WORD_1 src1_sel:DWORD
	v_fma_f16 v40, v40, s15, v56
	v_fma_f16 v55, v55, s15, v0
	v_pack_b32_f16 v0, v56, v0
	v_sub_f16_e32 v56, v3, v50
	v_sub_f16_e32 v57, v18, v41
	;; [unrolled: 1-line block ×6, first 2 shown]
	v_add_f16_e32 v58, v16, v13
	v_sub_f16_e32 v16, v5, v16
	v_add_f16_e32 v60, v15, v8
	v_sub_f16_e32 v15, v4, v15
	v_mul_f16_e32 v56, 0x3a52, v56
	v_mul_f16_e32 v57, 0x3a52, v57
	;; [unrolled: 1-line block ×4, first 2 shown]
	v_add_f16_e32 v58, v58, v5
	v_add_f16_e32 v60, v60, v4
	v_fma_f16 v62, v50, s14, v56
	v_fma_f16 v63, v41, s14, v57
	;; [unrolled: 1-line block ×4, first 2 shown]
	v_add_f16_e32 v62, v62, v40
	v_add_f16_e32 v63, v63, v55
	v_fma_f16 v64, v58, s1, v64
	v_fma_f16 v65, v60, s1, v65
	v_add_f16_e32 v66, v65, v62
	v_sub_f16_e32 v67, v63, v64
	v_pack_b32_f16 v66, v66, v67
	v_sub_f16_e32 v5, v13, v5
	s_waitcnt lgkmcnt(0)
	; wave barrier
	ds_write2_b32 v32, v0, v66 offset1:49
	v_sub_f16_e32 v0, v51, v3
	v_sub_f16_e32 v3, v54, v18
	;; [unrolled: 1-line block ×3, first 2 shown]
	v_fma_f16 v18, v5, s0, -v59
	v_mul_f16_e32 v5, 0x3b00, v5
	v_mul_f16_e32 v8, 0x2b26, v50
	;; [unrolled: 1-line block ×3, first 2 shown]
	v_fma_f16 v5, v16, s13, v5
	v_fma_f16 v16, v4, s0, -v61
	v_mul_f16_e32 v4, 0x3b00, v4
	v_fma_f16 v8, v0, s12, -v8
	v_fma_f16 v0, v0, s16, -v56
	;; [unrolled: 1-line block ×4, first 2 shown]
	v_fma_f16 v4, v15, s13, v4
	v_add_f16_e32 v0, v0, v40
	v_add_f16_e32 v3, v3, v55
	v_fma_f16 v5, v58, s1, v5
	v_fma_f16 v4, v60, s1, v4
	v_add_f16_e32 v8, v8, v40
	v_add_f16_e32 v13, v13, v55
	v_fma_f16 v15, v58, s1, v18
	v_fma_f16 v16, v60, s1, v16
	v_add_f16_e32 v18, v4, v0
	v_sub_f16_e32 v40, v3, v5
	v_pack_b32_f16 v18, v18, v40
	v_sub_f16_e32 v40, v8, v16
	v_add_f16_e32 v41, v15, v13
	v_add_f16_e32 v8, v16, v8
	v_sub_f16_e32 v13, v13, v15
	v_sub_f16_e32 v0, v0, v4
	v_add_f16_e32 v3, v5, v3
	v_pack_b32_f16 v4, v8, v13
	v_pack_b32_f16 v0, v0, v3
	;; [unrolled: 1-line block ×3, first 2 shown]
	ds_write2_b32 v32, v4, v0 offset0:196 offset1:245
	v_add_f16_e32 v4, v6, v53
	v_add_f16_e32 v5, v14, v52
	;; [unrolled: 1-line block ×4, first 2 shown]
	ds_write2_b32 v32, v18, v40 offset0:98 offset1:147
	v_add_f16_e32 v8, v39, v42
	v_add_f16_e32 v13, v5, v4
	;; [unrolled: 1-line block ×6, first 2 shown]
	v_sub_f16_e32 v0, v62, v65
	v_add_f16_e32 v3, v64, v63
	v_add_f16_e32 v41, v1, v13
	v_add_f16_sdwa v1, v1, v40 dst_sel:DWORD dst_unused:UNUSED_PAD src0_sel:WORD_1 src1_sel:DWORD
	v_pack_b32_f16 v0, v0, v3
	v_pack_b32_f16 v3, v41, v1
	ds_write2_b32 v36, v0, v3 offset0:38 offset1:87
	v_sub_f16_e32 v0, v6, v53
	v_sub_f16_e32 v2, v7, v2
	;; [unrolled: 1-line block ×11, first 2 shown]
	v_add_f16_e32 v15, v7, v3
	v_mul_f16_e32 v4, 0x3a52, v4
	v_sub_f16_e32 v14, v18, v16
	v_sub_f16_e32 v16, v7, v3
	;; [unrolled: 1-line block ×4, first 2 shown]
	v_add_f16_e32 v0, v15, v0
	v_add_f16_e32 v15, v9, v6
	v_sub_f16_e32 v17, v9, v6
	v_sub_f16_e32 v6, v6, v2
	v_fma_f16 v39, v5, s14, v4
	v_mul_f16_e32 v5, 0x2b26, v5
	v_sub_f16_e32 v9, v2, v9
	v_add_f16_e32 v2, v15, v2
	v_mul_f16_e32 v11, 0x3a52, v11
	v_mul_f16_e32 v15, 0x3846, v16
	;; [unrolled: 1-line block ×5, first 2 shown]
	v_fma_f16 v4, v10, s16, -v4
	v_fma_f16 v5, v10, s12, -v5
	v_mul_f16_e32 v10, 0x2b26, v14
	v_fma_f16 v13, v13, s15, v41
	v_fma_f16 v1, v40, s15, v1
	;; [unrolled: 1-line block ×7, first 2 shown]
	v_fma_f16 v11, v8, s16, -v11
	v_fma_f16 v8, v8, s12, -v10
	;; [unrolled: 1-line block ×4, first 2 shown]
	v_add_f16_e32 v39, v39, v13
	v_add_f16_e32 v40, v40, v1
	v_fma_f16 v7, v0, s1, v7
	v_fma_f16 v9, v2, s1, v9
	v_add_f16_e32 v11, v11, v1
	v_fma_f16 v17, v0, s1, v17
	v_fma_f16 v18, v2, s1, v18
	v_add_f16_e32 v5, v5, v13
	v_add_f16_e32 v1, v8, v1
	v_fma_f16 v0, v0, s1, v3
	v_fma_f16 v2, v2, s1, v6
	v_add_f16_e32 v41, v9, v39
	v_sub_f16_e32 v42, v40, v7
	v_add_f16_e32 v4, v4, v13
	v_sub_f16_e32 v3, v5, v2
	v_add_f16_e32 v2, v2, v5
	v_add_f16_e32 v5, v0, v1
	v_sub_f16_e32 v0, v1, v0
	v_pack_b32_f16 v41, v41, v42
	v_add_f16_e32 v42, v18, v4
	v_sub_f16_e32 v50, v11, v17
	v_sub_f16_e32 v1, v4, v18
	v_add_f16_e32 v4, v17, v11
	v_sub_f16_e32 v6, v39, v9
	v_add_f16_e32 v7, v7, v40
	v_pack_b32_f16 v3, v3, v5
	v_pack_b32_f16 v0, v2, v0
	;; [unrolled: 1-line block ×3, first 2 shown]
	ds_write2_b32 v33, v3, v0 offset0:106 offset1:155
	v_pack_b32_f16 v0, v1, v4
	v_pack_b32_f16 v1, v6, v7
	ds_write2_b32 v36, v41, v42 offset0:136 offset1:185
	ds_write2_b32 v30, v0, v1 offset0:76 offset1:125
	s_waitcnt lgkmcnt(0)
	; wave barrier
	s_waitcnt lgkmcnt(0)
	ds_read2_b32 v[0:1], v36 offset0:136 offset1:185
	ds_read2_b32 v[2:3], v33 offset0:106 offset1:155
	s_waitcnt lgkmcnt(1)
	v_lshrrev_b32_e32 v4, 16, v0
	v_mul_f16_sdwa v6, v44, v0 dst_sel:DWORD dst_unused:UNUSED_PAD src0_sel:WORD_1 src1_sel:DWORD
	v_lshrrev_b32_e32 v5, 16, v1
	v_fma_f16 v6, v44, v4, -v6
	v_mul_f16_sdwa v4, v44, v4 dst_sel:DWORD dst_unused:UNUSED_PAD src0_sel:WORD_1 src1_sel:DWORD
	v_fma_f16 v4, v44, v0, v4
	v_mul_f16_sdwa v0, v45, v5 dst_sel:DWORD dst_unused:UNUSED_PAD src0_sel:WORD_1 src1_sel:DWORD
	v_fma_f16 v7, v45, v1, v0
	v_mul_f16_sdwa v0, v45, v1 dst_sel:DWORD dst_unused:UNUSED_PAD src0_sel:WORD_1 src1_sel:DWORD
	s_waitcnt lgkmcnt(0)
	v_lshrrev_b32_e32 v1, 16, v2
	v_fma_f16 v5, v45, v5, -v0
	v_mul_f16_sdwa v0, v46, v2 dst_sel:DWORD dst_unused:UNUSED_PAD src0_sel:WORD_1 src1_sel:DWORD
	v_fma_f16 v9, v46, v1, -v0
	v_mul_f16_sdwa v0, v46, v1 dst_sel:DWORD dst_unused:UNUSED_PAD src0_sel:WORD_1 src1_sel:DWORD
	v_fma_f16 v10, v46, v2, v0
	ds_read2_b32 v[0:1], v30 offset0:76 offset1:125
	v_lshrrev_b32_e32 v8, 16, v3
	v_mul_f16_sdwa v2, v47, v8 dst_sel:DWORD dst_unused:UNUSED_PAD src0_sel:WORD_1 src1_sel:DWORD
	v_fma_f16 v11, v47, v3, v2
	v_mul_f16_sdwa v2, v47, v3 dst_sel:DWORD dst_unused:UNUSED_PAD src0_sel:WORD_1 src1_sel:DWORD
	v_fma_f16 v8, v47, v8, -v2
	s_waitcnt lgkmcnt(0)
	v_lshrrev_b32_e32 v2, 16, v0
	v_mul_f16_sdwa v3, v48, v0 dst_sel:DWORD dst_unused:UNUSED_PAD src0_sel:WORD_1 src1_sel:DWORD
	v_fma_f16 v13, v48, v2, -v3
	v_mul_f16_sdwa v2, v48, v2 dst_sel:DWORD dst_unused:UNUSED_PAD src0_sel:WORD_1 src1_sel:DWORD
	v_fma_f16 v14, v48, v0, v2
	v_lshrrev_b32_e32 v0, 16, v1
	ds_read2_b32 v[2:3], v36 offset0:38 offset1:87
	v_mul_f16_sdwa v15, v49, v0 dst_sel:DWORD dst_unused:UNUSED_PAD src0_sel:WORD_1 src1_sel:DWORD
	v_fma_f16 v15, v49, v1, v15
	v_mul_f16_sdwa v1, v49, v1 dst_sel:DWORD dst_unused:UNUSED_PAD src0_sel:WORD_1 src1_sel:DWORD
	v_fma_f16 v16, v49, v0, -v1
	ds_read2_b32 v[0:1], v32 offset1:49
	s_waitcnt lgkmcnt(1)
	v_lshrrev_b32_e32 v17, 16, v3
	v_mul_f16_sdwa v18, v43, v3 dst_sel:DWORD dst_unused:UNUSED_PAD src0_sel:WORD_1 src1_sel:DWORD
	v_fma_f16 v18, v43, v17, -v18
	v_mul_f16_sdwa v17, v43, v17 dst_sel:DWORD dst_unused:UNUSED_PAD src0_sel:WORD_1 src1_sel:DWORD
	v_fma_f16 v3, v43, v3, v17
	s_waitcnt lgkmcnt(0)
	v_sub_f16_e32 v17, v1, v4
	v_lshrrev_b32_e32 v4, 16, v0
	v_sub_f16_e32 v3, v0, v3
	v_lshrrev_b32_e32 v39, 16, v1
	v_fma_f16 v40, v1, 2.0, -v17
	v_sub_f16_e32 v1, v4, v18
	v_fma_f16 v0, v0, 2.0, -v3
	v_fma_f16 v4, v4, 2.0, -v1
	v_pack_b32_f16 v18, v0, v4
	v_pack_b32_f16 v41, v3, v1
	ds_read2_b32 v[0:1], v32 offset0:98 offset1:147
	ds_read2_b32 v[3:4], v32 offset0:196 offset1:245
	v_sub_f16_e32 v6, v39, v6
	v_fma_f16 v39, v39, 2.0, -v6
	v_pack_b32_f16 v6, v17, v6
	s_waitcnt lgkmcnt(1)
	v_lshrrev_b32_e32 v17, 16, v0
	v_pack_b32_f16 v39, v40, v39
	v_sub_f16_e32 v7, v0, v7
	v_sub_f16_e32 v5, v17, v5
	ds_write_b32 v32, v41 offset:1372
	ds_write2_b32 v32, v18, v39 offset1:49
	v_pack_b32_f16 v18, v7, v5
	v_fma_f16 v5, v17, 2.0, -v5
	v_fma_f16 v0, v0, 2.0, -v7
	v_lshrrev_b32_e32 v7, 16, v1
	ds_write2_b32 v36, v6, v18 offset0:136 offset1:185
	v_sub_f16_e32 v6, v1, v10
	v_pack_b32_f16 v0, v0, v5
	v_sub_f16_e32 v5, v7, v9
	v_fma_f16 v1, v1, 2.0, -v6
	v_fma_f16 v7, v7, 2.0, -v5
	v_pack_b32_f16 v1, v1, v7
	ds_write2_b32 v32, v0, v1 offset0:98 offset1:147
	s_waitcnt lgkmcnt(4)
	v_lshrrev_b32_e32 v0, 16, v3
	v_lshrrev_b32_e32 v1, 16, v4
	v_sub_f16_e32 v7, v3, v11
	v_sub_f16_e32 v9, v4, v14
	v_lshrrev_b32_e32 v11, 16, v2
	v_sub_f16_e32 v8, v0, v8
	v_sub_f16_e32 v13, v1, v13
	v_fma_f16 v3, v3, 2.0, -v7
	v_fma_f16 v4, v4, 2.0, -v9
	v_sub_f16_e32 v10, v2, v15
	v_fma_f16 v0, v0, 2.0, -v8
	v_fma_f16 v1, v1, 2.0, -v13
	;; [unrolled: 3-line block ×3, first 2 shown]
	v_pack_b32_f16 v5, v6, v5
	v_pack_b32_f16 v0, v3, v0
	;; [unrolled: 1-line block ×4, first 2 shown]
	ds_write2_b32 v33, v5, v3 offset0:106 offset1:155
	ds_write2_b32 v32, v0, v1 offset0:196 offset1:245
	v_pack_b32_f16 v1, v2, v11
	v_pack_b32_f16 v0, v9, v13
	ds_write_b32 v32, v1 offset:1176
	v_pack_b32_f16 v1, v10, v14
	ds_write2_b32 v30, v0, v1 offset0:76 offset1:125
	s_waitcnt lgkmcnt(0)
	; wave barrier
	s_waitcnt lgkmcnt(0)
	ds_read2_b32 v[0:1], v32 offset1:49
	v_mad_u64_u32 v[4:5], s[0:1], s10, v12, 0
	s_movk_i32 s10, 0x40f
	s_waitcnt lgkmcnt(0)
	v_lshrrev_b32_e32 v7, 16, v0
	v_mul_f16_sdwa v2, v37, v7 dst_sel:DWORD dst_unused:UNUSED_PAD src0_sel:WORD_1 src1_sel:DWORD
	v_fma_f16 v2, v37, v0, v2
	v_cvt_f32_f16_e32 v2, v2
	v_mad_u64_u32 v[5:6], s[0:1], s11, v12, v[5:6]
	v_mul_f16_sdwa v0, v37, v0 dst_sel:DWORD dst_unused:UNUSED_PAD src0_sel:WORD_1 src1_sel:DWORD
	v_cvt_f64_f32_e32 v[2:3], v2
	v_fma_f16 v0, v37, v7, -v0
	v_cvt_f32_f16_e32 v7, v0
	v_mov_b32_e32 v0, 0x7c00
	v_mul_f64 v[2:3], v[2:3], s[2:3]
	s_mov_b32 s11, 0x8000
	v_lshlrev_b64 v[4:5], 2, v[4:5]
	v_and_or_b32 v2, v3, s6, v2
	v_cmp_ne_u32_e32 vcc, 0, v2
	v_cndmask_b32_e64 v2, 0, 1, vcc
	v_lshrrev_b32_e32 v6, 8, v3
	v_bfe_u32 v8, v3, 20, 11
	v_and_or_b32 v2, v6, s7, v2
	v_sub_u32_e32 v9, 0x3f1, v8
	v_or_b32_e32 v6, 0x1000, v2
	v_med3_i32 v9, v9, 0, 13
	v_lshrrev_b32_e32 v10, v9, v6
	v_lshlrev_b32_e32 v9, v9, v10
	v_cmp_ne_u32_e32 vcc, v9, v6
	v_cndmask_b32_e64 v6, 0, 1, vcc
	v_add_u32_e32 v8, 0xfffffc10, v8
	v_or_b32_e32 v6, v10, v6
	v_lshl_or_b32 v9, v8, 12, v2
	v_cmp_gt_i32_e32 vcc, 1, v8
	v_cndmask_b32_e32 v6, v9, v6, vcc
	v_and_b32_e32 v9, 7, v6
	v_cmp_lt_i32_e32 vcc, 5, v9
	v_cmp_eq_u32_e64 s[0:1], 3, v9
	v_lshrrev_b32_e32 v6, 2, v6
	s_or_b64 vcc, s[0:1], vcc
	v_addc_co_u32_e32 v9, vcc, 0, v6, vcc
	v_cvt_f64_f32_e32 v[6:7], v7
	v_cmp_gt_i32_e32 vcc, 31, v8
	v_cndmask_b32_e32 v9, v0, v9, vcc
	v_cmp_ne_u32_e32 vcc, 0, v2
	v_mul_f64 v[6:7], v[6:7], s[2:3]
	v_cndmask_b32_e64 v2, 0, 1, vcc
	v_lshl_or_b32 v2, v2, 9, v0
	v_cmp_eq_u32_e32 vcc, s10, v8
	v_cndmask_b32_e32 v2, v9, v2, vcc
	v_lshrrev_b32_e32 v3, 16, v3
	v_and_or_b32 v10, v3, s11, v2
	v_and_b32_e32 v10, 0xffff, v10
	v_and_or_b32 v2, v7, s6, v6
	v_cmp_ne_u32_e32 vcc, 0, v2
	v_cndmask_b32_e64 v2, 0, 1, vcc
	v_lshrrev_b32_e32 v3, 8, v7
	v_bfe_u32 v6, v7, 20, 11
	v_and_or_b32 v2, v3, s7, v2
	v_sub_u32_e32 v8, 0x3f1, v6
	v_or_b32_e32 v3, 0x1000, v2
	v_med3_i32 v8, v8, 0, 13
	v_lshrrev_b32_e32 v9, v8, v3
	v_lshlrev_b32_e32 v8, v8, v9
	v_cmp_ne_u32_e32 vcc, v8, v3
	v_cndmask_b32_e64 v3, 0, 1, vcc
	v_add_u32_e32 v6, 0xfffffc10, v6
	v_or_b32_e32 v3, v9, v3
	v_lshl_or_b32 v8, v6, 12, v2
	v_cmp_gt_i32_e32 vcc, 1, v6
	v_cndmask_b32_e32 v3, v8, v3, vcc
	v_and_b32_e32 v8, 7, v3
	v_cmp_lt_i32_e32 vcc, 5, v8
	v_cmp_eq_u32_e64 s[0:1], 3, v8
	v_lshrrev_b32_e32 v3, 2, v3
	s_or_b64 vcc, s[0:1], vcc
	v_addc_co_u32_e32 v3, vcc, 0, v3, vcc
	v_cmp_gt_i32_e32 vcc, 31, v6
	v_cndmask_b32_e32 v3, v0, v3, vcc
	v_cmp_ne_u32_e32 vcc, 0, v2
	v_cndmask_b32_e64 v2, 0, 1, vcc
	v_lshl_or_b32 v2, v2, 9, v0
	v_cmp_eq_u32_e32 vcc, s10, v6
	v_mad_u64_u32 v[8:9], s[0:1], s8, v34, 0
	v_cndmask_b32_e32 v11, v3, v2, vcc
	ds_read2_b32 v[2:3], v32 offset0:98 offset1:147
	v_mov_b32_e32 v6, v9
	v_lshrrev_b32_e32 v12, 16, v7
	v_mad_u64_u32 v[6:7], s[0:1], s9, v34, v[6:7]
	s_waitcnt lgkmcnt(0)
	v_lshrrev_b32_e32 v13, 16, v2
	v_mul_f16_sdwa v7, v38, v13 dst_sel:DWORD dst_unused:UNUSED_PAD src0_sel:WORD_1 src1_sel:DWORD
	v_fma_f16 v7, v38, v2, v7
	v_cvt_f32_f16_e32 v7, v7
	v_mov_b32_e32 v9, v6
	v_and_or_b32 v11, v12, s11, v11
	v_lshl_or_b32 v10, v11, 16, v10
	v_cvt_f64_f32_e32 v[6:7], v7
	v_mov_b32_e32 v11, s5
	v_add_co_u32_e32 v12, vcc, s4, v4
	v_mul_f64 v[6:7], v[6:7], s[2:3]
	v_addc_co_u32_e32 v11, vcc, v11, v5, vcc
	v_lshlrev_b64 v[4:5], 2, v[8:9]
	v_mul_f16_sdwa v2, v38, v2 dst_sel:DWORD dst_unused:UNUSED_PAD src0_sel:WORD_1 src1_sel:DWORD
	v_add_co_u32_e32 v8, vcc, v12, v4
	v_addc_co_u32_e32 v9, vcc, v11, v5, vcc
	v_and_or_b32 v4, v7, s6, v6
	v_cmp_ne_u32_e32 vcc, 0, v4
	v_cndmask_b32_e64 v4, 0, 1, vcc
	v_lshrrev_b32_e32 v5, 8, v7
	global_store_dword v[8:9], v10, off
	v_and_or_b32 v10, v5, s7, v4
	v_bfe_u32 v5, v7, 20, 11
	v_sub_u32_e32 v6, 0x3f1, v5
	v_or_b32_e32 v4, 0x1000, v10
	v_med3_i32 v6, v6, 0, 13
	v_lshrrev_b32_e32 v11, v6, v4
	v_lshlrev_b32_e32 v6, v6, v11
	v_cmp_ne_u32_e32 vcc, v6, v4
	v_cndmask_b32_e64 v4, 0, 1, vcc
	v_fma_f16 v2, v38, v13, -v2
	v_or_b32_e32 v4, v11, v4
	v_add_u32_e32 v11, 0xfffffc10, v5
	v_cvt_f32_f16_e32 v2, v2
	v_lshl_or_b32 v5, v11, 12, v10
	v_cmp_gt_i32_e32 vcc, 1, v11
	v_cndmask_b32_e32 v4, v5, v4, vcc
	v_and_b32_e32 v5, 7, v4
	v_cmp_lt_i32_e32 vcc, 5, v5
	v_cmp_eq_u32_e64 s[0:1], 3, v5
	v_lshrrev_b32_e32 v6, 2, v4
	v_cvt_f64_f32_e32 v[4:5], v2
	s_or_b64 vcc, s[0:1], vcc
	v_addc_co_u32_e32 v2, vcc, 0, v6, vcc
	v_mul_f64 v[5:6], v[4:5], s[2:3]
	v_cmp_gt_i32_e32 vcc, 31, v11
	v_cndmask_b32_e32 v2, v0, v2, vcc
	v_cmp_ne_u32_e32 vcc, 0, v10
	v_cndmask_b32_e64 v4, 0, 1, vcc
	v_lshl_or_b32 v4, v4, 9, v0
	v_cmp_eq_u32_e32 vcc, s10, v11
	v_cndmask_b32_e32 v2, v2, v4, vcc
	v_lshrrev_b32_e32 v4, 16, v7
	v_and_or_b32 v2, v4, s11, v2
	v_and_or_b32 v4, v6, s6, v5
	v_cmp_ne_u32_e32 vcc, 0, v4
	v_cndmask_b32_e64 v4, 0, 1, vcc
	v_lshrrev_b32_e32 v5, 8, v6
	v_bfe_u32 v7, v6, 20, 11
	v_and_or_b32 v4, v5, s7, v4
	v_sub_u32_e32 v10, 0x3f1, v7
	v_or_b32_e32 v5, 0x1000, v4
	v_med3_i32 v10, v10, 0, 13
	v_lshrrev_b32_e32 v11, v10, v5
	v_lshlrev_b32_e32 v10, v10, v11
	v_cmp_ne_u32_e32 vcc, v10, v5
	v_cndmask_b32_e64 v5, 0, 1, vcc
	v_add_u32_e32 v7, 0xfffffc10, v7
	v_or_b32_e32 v5, v11, v5
	v_lshl_or_b32 v10, v7, 12, v4
	v_cmp_gt_i32_e32 vcc, 1, v7
	v_cndmask_b32_e32 v5, v10, v5, vcc
	v_and_b32_e32 v10, 7, v5
	v_cmp_lt_i32_e32 vcc, 5, v10
	v_cmp_eq_u32_e64 s[0:1], 3, v10
	v_lshrrev_b32_e32 v5, 2, v5
	s_or_b64 vcc, s[0:1], vcc
	v_addc_co_u32_e32 v5, vcc, 0, v5, vcc
	v_cmp_gt_i32_e32 vcc, 31, v7
	v_cndmask_b32_e32 v10, v0, v5, vcc
	v_cmp_ne_u32_e32 vcc, 0, v4
	ds_read2_b32 v[4:5], v32 offset0:196 offset1:245
	v_cndmask_b32_e64 v11, 0, 1, vcc
	v_lshl_or_b32 v11, v11, 9, v0
	v_cmp_eq_u32_e32 vcc, s10, v7
	v_cndmask_b32_e32 v7, v10, v11, vcc
	s_waitcnt lgkmcnt(0)
	v_lshrrev_b32_e32 v10, 16, v4
	v_mul_f16_sdwa v11, v35, v10 dst_sel:DWORD dst_unused:UNUSED_PAD src0_sel:WORD_1 src1_sel:DWORD
	v_fma_f16 v11, v35, v4, v11
	v_cvt_f32_f16_e32 v11, v11
	v_lshrrev_b32_e32 v6, 16, v6
	v_and_or_b32 v6, v6, s11, v7
	v_and_b32_e32 v2, 0xffff, v2
	v_lshl_or_b32 v2, v6, 16, v2
	v_cvt_f64_f32_e32 v[6:7], v11
	s_mul_i32 s0, s9, 0x188
	s_mul_hi_u32 s4, s8, 0x188
	s_add_i32 s4, s4, s0
	v_mul_f64 v[6:7], v[6:7], s[2:3]
	s_mul_i32 s5, s8, 0x188
	v_mov_b32_e32 v11, s4
	v_add_co_u32_e32 v8, vcc, s5, v8
	v_addc_co_u32_e32 v9, vcc, v9, v11, vcc
	global_store_dword v[8:9], v2, off
	v_and_or_b32 v2, v7, s6, v6
	v_cmp_ne_u32_e32 vcc, 0, v2
	v_cndmask_b32_e64 v2, 0, 1, vcc
	v_lshrrev_b32_e32 v6, 8, v7
	v_bfe_u32 v11, v7, 20, 11
	v_and_or_b32 v2, v6, s7, v2
	v_sub_u32_e32 v12, 0x3f1, v11
	v_or_b32_e32 v6, 0x1000, v2
	v_med3_i32 v12, v12, 0, 13
	v_lshrrev_b32_e32 v13, v12, v6
	v_lshlrev_b32_e32 v12, v12, v13
	v_mul_f16_sdwa v4, v35, v4 dst_sel:DWORD dst_unused:UNUSED_PAD src0_sel:WORD_1 src1_sel:DWORD
	v_cmp_ne_u32_e32 vcc, v12, v6
	v_fma_f16 v4, v35, v10, -v4
	v_cndmask_b32_e64 v6, 0, 1, vcc
	v_add_u32_e32 v12, 0xfffffc10, v11
	v_cvt_f32_f16_e32 v4, v4
	v_or_b32_e32 v6, v13, v6
	v_lshl_or_b32 v11, v12, 12, v2
	v_cmp_gt_i32_e32 vcc, 1, v12
	v_cndmask_b32_e32 v6, v11, v6, vcc
	v_and_b32_e32 v11, 7, v6
	v_cmp_lt_i32_e32 vcc, 5, v11
	v_cmp_eq_u32_e64 s[0:1], 3, v11
	v_cvt_f64_f32_e32 v[10:11], v4
	v_lshrrev_b32_e32 v6, 2, v6
	s_or_b64 vcc, s[0:1], vcc
	v_addc_co_u32_e32 v4, vcc, 0, v6, vcc
	v_mul_f64 v[10:11], v[10:11], s[2:3]
	v_cmp_gt_i32_e32 vcc, 31, v12
	v_cndmask_b32_e32 v4, v0, v4, vcc
	v_cmp_ne_u32_e32 vcc, 0, v2
	v_cndmask_b32_e64 v2, 0, 1, vcc
	v_lshl_or_b32 v2, v2, 9, v0
	v_cmp_eq_u32_e32 vcc, s10, v12
	v_cndmask_b32_e32 v2, v4, v2, vcc
	v_lshrrev_b32_e32 v4, 16, v7
	v_and_or_b32 v2, v4, s11, v2
	v_and_or_b32 v4, v11, s6, v10
	v_cmp_ne_u32_e32 vcc, 0, v4
	v_cndmask_b32_e64 v4, 0, 1, vcc
	v_lshrrev_b32_e32 v6, 8, v11
	v_bfe_u32 v7, v11, 20, 11
	v_and_or_b32 v4, v6, s7, v4
	v_sub_u32_e32 v10, 0x3f1, v7
	v_or_b32_e32 v6, 0x1000, v4
	v_med3_i32 v10, v10, 0, 13
	v_lshrrev_b32_e32 v12, v10, v6
	v_lshlrev_b32_e32 v10, v10, v12
	v_cmp_ne_u32_e32 vcc, v10, v6
	v_cndmask_b32_e64 v6, 0, 1, vcc
	v_add_u32_e32 v10, 0xfffffc10, v7
	v_or_b32_e32 v6, v12, v6
	v_lshl_or_b32 v7, v10, 12, v4
	v_cmp_gt_i32_e32 vcc, 1, v10
	v_cndmask_b32_e32 v6, v7, v6, vcc
	v_and_b32_e32 v7, 7, v6
	v_cmp_lt_i32_e32 vcc, 5, v7
	v_cmp_eq_u32_e64 s[0:1], 3, v7
	v_lshrrev_b32_e32 v6, 2, v6
	s_or_b64 vcc, s[0:1], vcc
	v_addc_co_u32_e32 v12, vcc, 0, v6, vcc
	ds_read2_b32 v[6:7], v36 offset0:38 offset1:87
	v_cmp_gt_i32_e32 vcc, 31, v10
	v_cndmask_b32_e32 v12, v0, v12, vcc
	v_cmp_ne_u32_e32 vcc, 0, v4
	v_cndmask_b32_e64 v4, 0, 1, vcc
	s_waitcnt lgkmcnt(0)
	v_lshrrev_b32_e32 v14, 16, v6
	v_mul_f16_sdwa v13, v31, v14 dst_sel:DWORD dst_unused:UNUSED_PAD src0_sel:WORD_1 src1_sel:DWORD
	v_fma_f16 v13, v31, v6, v13
	v_cvt_f32_f16_e32 v13, v13
	v_lshl_or_b32 v4, v4, 9, v0
	v_cmp_eq_u32_e32 vcc, s10, v10
	v_cndmask_b32_e32 v4, v12, v4, vcc
	v_cvt_f64_f32_e32 v[12:13], v13
	v_lshrrev_b32_e32 v10, 16, v11
	v_and_or_b32 v4, v10, s11, v4
	v_and_b32_e32 v2, 0xffff, v2
	v_mul_f64 v[10:11], v[12:13], s[2:3]
	v_lshl_or_b32 v2, v4, 16, v2
	v_mov_b32_e32 v4, s4
	v_add_co_u32_e32 v12, vcc, s5, v8
	v_addc_co_u32_e32 v13, vcc, v9, v4, vcc
	global_store_dword v[12:13], v2, off
	v_and_or_b32 v2, v11, s6, v10
	v_cmp_ne_u32_e32 vcc, 0, v2
	v_cndmask_b32_e64 v2, 0, 1, vcc
	v_lshrrev_b32_e32 v4, 8, v11
	v_bfe_u32 v8, v11, 20, 11
	v_and_or_b32 v2, v4, s7, v2
	v_sub_u32_e32 v9, 0x3f1, v8
	v_or_b32_e32 v4, 0x1000, v2
	v_med3_i32 v9, v9, 0, 13
	v_lshrrev_b32_e32 v10, v9, v4
	v_lshlrev_b32_e32 v9, v9, v10
	v_mul_f16_sdwa v6, v31, v6 dst_sel:DWORD dst_unused:UNUSED_PAD src0_sel:WORD_1 src1_sel:DWORD
	v_cmp_ne_u32_e32 vcc, v9, v4
	v_fma_f16 v6, v31, v14, -v6
	v_cndmask_b32_e64 v4, 0, 1, vcc
	v_add_u32_e32 v15, 0xfffffc10, v8
	v_cvt_f32_f16_e32 v6, v6
	v_or_b32_e32 v4, v10, v4
	v_lshl_or_b32 v8, v15, 12, v2
	v_cmp_gt_i32_e32 vcc, 1, v15
	v_cndmask_b32_e32 v4, v8, v4, vcc
	v_and_b32_e32 v8, 7, v4
	v_cmp_lt_i32_e32 vcc, 5, v8
	v_cmp_eq_u32_e64 s[0:1], 3, v8
	v_cvt_f64_f32_e32 v[8:9], v6
	v_lshrrev_b32_e32 v4, 2, v4
	s_or_b64 vcc, s[0:1], vcc
	v_addc_co_u32_e32 v4, vcc, 0, v4, vcc
	v_mul_f64 v[9:10], v[8:9], s[2:3]
	v_cmp_gt_i32_e32 vcc, 31, v15
	v_cndmask_b32_e32 v4, v0, v4, vcc
	v_cmp_ne_u32_e32 vcc, 0, v2
	v_cndmask_b32_e64 v2, 0, 1, vcc
	v_lshl_or_b32 v2, v2, 9, v0
	v_cmp_eq_u32_e32 vcc, s10, v15
	v_cndmask_b32_e32 v2, v4, v2, vcc
	v_lshrrev_b32_e32 v4, 16, v11
	v_and_or_b32 v2, v4, s11, v2
	v_and_or_b32 v4, v10, s6, v9
	v_cmp_ne_u32_e32 vcc, 0, v4
	v_cndmask_b32_e64 v4, 0, 1, vcc
	v_lshrrev_b32_e32 v6, 8, v10
	v_bfe_u32 v8, v10, 20, 11
	v_and_or_b32 v4, v6, s7, v4
	v_sub_u32_e32 v9, 0x3f1, v8
	v_or_b32_e32 v6, 0x1000, v4
	v_med3_i32 v9, v9, 0, 13
	v_lshrrev_b32_e32 v11, v9, v6
	v_lshlrev_b32_e32 v9, v9, v11
	v_cmp_ne_u32_e32 vcc, v9, v6
	v_cndmask_b32_e64 v6, 0, 1, vcc
	v_or_b32_e32 v6, v11, v6
	v_add_u32_e32 v11, 0xfffffc10, v8
	v_lshl_or_b32 v8, v11, 12, v4
	v_cmp_gt_i32_e32 vcc, 1, v11
	v_cndmask_b32_e32 v6, v8, v6, vcc
	v_and_b32_e32 v8, 7, v6
	v_cmp_lt_i32_e32 vcc, 5, v8
	v_cmp_eq_u32_e64 s[0:1], 3, v8
	ds_read2_b32 v[8:9], v36 offset0:136 offset1:185
	v_lshrrev_b32_e32 v6, 2, v6
	s_or_b64 vcc, s[0:1], vcc
	v_addc_co_u32_e32 v6, vcc, 0, v6, vcc
	s_waitcnt lgkmcnt(0)
	v_lshrrev_b32_e32 v16, 16, v8
	v_mul_f16_sdwa v14, v29, v16 dst_sel:DWORD dst_unused:UNUSED_PAD src0_sel:WORD_1 src1_sel:DWORD
	v_fma_f16 v14, v29, v8, v14
	v_cvt_f32_f16_e32 v14, v14
	v_cmp_gt_i32_e32 vcc, 31, v11
	v_cndmask_b32_e32 v6, v0, v6, vcc
	v_cmp_ne_u32_e32 vcc, 0, v4
	v_cvt_f64_f32_e32 v[14:15], v14
	v_cndmask_b32_e64 v4, 0, 1, vcc
	v_lshl_or_b32 v4, v4, 9, v0
	v_cmp_eq_u32_e32 vcc, s10, v11
	v_cndmask_b32_e32 v4, v6, v4, vcc
	v_lshrrev_b32_e32 v6, 16, v10
	v_mul_f64 v[10:11], v[14:15], s[2:3]
	v_and_or_b32 v4, v6, s11, v4
	v_and_b32_e32 v2, 0xffff, v2
	v_lshl_or_b32 v2, v4, 16, v2
	v_mov_b32_e32 v4, s4
	v_add_co_u32_e32 v12, vcc, s5, v12
	v_addc_co_u32_e32 v13, vcc, v13, v4, vcc
	global_store_dword v[12:13], v2, off
	v_and_or_b32 v2, v11, s6, v10
	v_cmp_ne_u32_e32 vcc, 0, v2
	v_cndmask_b32_e64 v2, 0, 1, vcc
	v_lshrrev_b32_e32 v4, 8, v11
	v_bfe_u32 v6, v11, 20, 11
	v_and_or_b32 v2, v4, s7, v2
	v_sub_u32_e32 v10, 0x3f1, v6
	v_mul_f16_sdwa v8, v29, v8 dst_sel:DWORD dst_unused:UNUSED_PAD src0_sel:WORD_1 src1_sel:DWORD
	v_or_b32_e32 v4, 0x1000, v2
	v_med3_i32 v10, v10, 0, 13
	v_fma_f16 v8, v29, v16, -v8
	v_lshrrev_b32_e32 v14, v10, v4
	v_cvt_f32_f16_e32 v8, v8
	v_lshlrev_b32_e32 v10, v10, v14
	v_cmp_ne_u32_e32 vcc, v10, v4
	v_cndmask_b32_e64 v4, 0, 1, vcc
	v_or_b32_e32 v4, v14, v4
	v_add_u32_e32 v6, 0xfffffc10, v6
	v_cvt_f64_f32_e32 v[14:15], v8
	v_lshl_or_b32 v10, v6, 12, v2
	v_cmp_gt_i32_e32 vcc, 1, v6
	v_cndmask_b32_e32 v4, v10, v4, vcc
	v_and_b32_e32 v10, 7, v4
	v_cmp_lt_i32_e32 vcc, 5, v10
	v_cmp_eq_u32_e64 s[0:1], 3, v10
	v_mul_f64 v[14:15], v[14:15], s[2:3]
	v_lshrrev_b32_e32 v4, 2, v4
	s_or_b64 vcc, s[0:1], vcc
	v_addc_co_u32_e32 v4, vcc, 0, v4, vcc
	v_cmp_gt_i32_e32 vcc, 31, v6
	v_cndmask_b32_e32 v4, v0, v4, vcc
	v_cmp_ne_u32_e32 vcc, 0, v2
	v_cndmask_b32_e64 v2, 0, 1, vcc
	v_lshl_or_b32 v2, v2, 9, v0
	v_cmp_eq_u32_e32 vcc, s10, v6
	v_cndmask_b32_e32 v2, v4, v2, vcc
	v_lshrrev_b32_e32 v4, 16, v11
	v_and_or_b32 v2, v4, s11, v2
	v_and_or_b32 v4, v15, s6, v14
	v_cmp_ne_u32_e32 vcc, 0, v4
	v_cndmask_b32_e64 v4, 0, 1, vcc
	v_lshrrev_b32_e32 v6, 8, v15
	v_bfe_u32 v8, v15, 20, 11
	v_and_or_b32 v4, v6, s7, v4
	v_sub_u32_e32 v10, 0x3f1, v8
	v_or_b32_e32 v6, 0x1000, v4
	v_med3_i32 v10, v10, 0, 13
	v_lshrrev_b32_e32 v11, v10, v6
	v_lshlrev_b32_e32 v10, v10, v11
	v_cmp_ne_u32_e32 vcc, v10, v6
	v_cndmask_b32_e64 v6, 0, 1, vcc
	v_add_u32_e32 v8, 0xfffffc10, v8
	v_or_b32_e32 v6, v11, v6
	v_lshl_or_b32 v10, v8, 12, v4
	v_cmp_gt_i32_e32 vcc, 1, v8
	v_cndmask_b32_e32 v6, v10, v6, vcc
	v_and_b32_e32 v10, 7, v6
	v_cmp_lt_i32_e32 vcc, 5, v10
	v_cmp_eq_u32_e64 s[0:1], 3, v10
	ds_read2_b32 v[10:11], v33 offset0:106 offset1:155
	v_lshrrev_b32_e32 v6, 2, v6
	s_or_b64 vcc, s[0:1], vcc
	v_addc_co_u32_e32 v6, vcc, 0, v6, vcc
	s_waitcnt lgkmcnt(0)
	v_lshrrev_b32_e32 v18, 16, v10
	v_mul_f16_sdwa v14, v28, v18 dst_sel:DWORD dst_unused:UNUSED_PAD src0_sel:WORD_1 src1_sel:DWORD
	v_fma_f16 v14, v28, v10, v14
	v_cvt_f32_f16_e32 v14, v14
	v_cmp_gt_i32_e32 vcc, 31, v8
	v_cndmask_b32_e32 v6, v0, v6, vcc
	v_cmp_ne_u32_e32 vcc, 0, v4
	v_cvt_f64_f32_e32 v[16:17], v14
	v_cndmask_b32_e64 v4, 0, 1, vcc
	v_lshl_or_b32 v4, v4, 9, v0
	v_cmp_eq_u32_e32 vcc, s10, v8
	v_cndmask_b32_e32 v4, v6, v4, vcc
	v_lshrrev_b32_e32 v6, 16, v15
	v_mul_f64 v[14:15], v[16:17], s[2:3]
	v_and_or_b32 v4, v6, s11, v4
	v_and_b32_e32 v2, 0xffff, v2
	v_lshl_or_b32 v2, v4, 16, v2
	v_mov_b32_e32 v4, s4
	v_add_co_u32_e32 v16, vcc, s5, v12
	v_addc_co_u32_e32 v17, vcc, v13, v4, vcc
	global_store_dword v[16:17], v2, off
	v_and_or_b32 v2, v15, s6, v14
	v_cmp_ne_u32_e32 vcc, 0, v2
	v_cndmask_b32_e64 v2, 0, 1, vcc
	v_lshrrev_b32_e32 v4, 8, v15
	v_bfe_u32 v6, v15, 20, 11
	v_and_or_b32 v2, v4, s7, v2
	v_sub_u32_e32 v8, 0x3f1, v6
	v_mul_f16_sdwa v10, v28, v10 dst_sel:DWORD dst_unused:UNUSED_PAD src0_sel:WORD_1 src1_sel:DWORD
	v_or_b32_e32 v4, 0x1000, v2
	v_med3_i32 v8, v8, 0, 13
	v_fma_f16 v10, v28, v18, -v10
	v_lshrrev_b32_e32 v12, v8, v4
	v_cvt_f32_f16_e32 v10, v10
	v_lshlrev_b32_e32 v8, v8, v12
	v_cmp_ne_u32_e32 vcc, v8, v4
	v_cndmask_b32_e64 v4, 0, 1, vcc
	v_or_b32_e32 v4, v12, v4
	v_add_u32_e32 v6, 0xfffffc10, v6
	v_cvt_f64_f32_e32 v[12:13], v10
	v_lshl_or_b32 v8, v6, 12, v2
	v_cmp_gt_i32_e32 vcc, 1, v6
	v_cndmask_b32_e32 v4, v8, v4, vcc
	v_and_b32_e32 v8, 7, v4
	v_cmp_lt_i32_e32 vcc, 5, v8
	v_cmp_eq_u32_e64 s[0:1], 3, v8
	v_mul_f64 v[13:14], v[12:13], s[2:3]
	v_lshrrev_b32_e32 v4, 2, v4
	s_or_b64 vcc, s[0:1], vcc
	v_addc_co_u32_e32 v4, vcc, 0, v4, vcc
	v_cmp_gt_i32_e32 vcc, 31, v6
	v_cndmask_b32_e32 v4, v0, v4, vcc
	v_cmp_ne_u32_e32 vcc, 0, v2
	v_cndmask_b32_e64 v2, 0, 1, vcc
	v_lshl_or_b32 v2, v2, 9, v0
	v_cmp_eq_u32_e32 vcc, s10, v6
	v_cndmask_b32_e32 v2, v4, v2, vcc
	v_lshrrev_b32_e32 v4, 16, v15
	v_and_or_b32 v2, v4, s11, v2
	v_and_or_b32 v4, v14, s6, v13
	v_cmp_ne_u32_e32 vcc, 0, v4
	v_cndmask_b32_e64 v4, 0, 1, vcc
	v_lshrrev_b32_e32 v6, 8, v14
	v_bfe_u32 v8, v14, 20, 11
	v_and_or_b32 v4, v6, s7, v4
	v_sub_u32_e32 v10, 0x3f1, v8
	v_or_b32_e32 v6, 0x1000, v4
	v_med3_i32 v10, v10, 0, 13
	v_lshrrev_b32_e32 v12, v10, v6
	v_lshlrev_b32_e32 v10, v10, v12
	v_cmp_ne_u32_e32 vcc, v10, v6
	v_cndmask_b32_e64 v6, 0, 1, vcc
	v_or_b32_e32 v6, v12, v6
	ds_read2_b32 v[12:13], v30 offset0:76 offset1:125
	v_add_u32_e32 v8, 0xfffffc10, v8
	v_lshl_or_b32 v10, v8, 12, v4
	v_cmp_gt_i32_e32 vcc, 1, v8
	v_cndmask_b32_e32 v6, v10, v6, vcc
	v_and_b32_e32 v10, 7, v6
	v_cmp_lt_i32_e32 vcc, 5, v10
	v_cmp_eq_u32_e64 s[0:1], 3, v10
	s_waitcnt lgkmcnt(0)
	v_lshrrev_b32_e32 v10, 16, v12
	v_mul_f16_sdwa v15, v27, v10 dst_sel:DWORD dst_unused:UNUSED_PAD src0_sel:WORD_1 src1_sel:DWORD
	v_fma_f16 v15, v27, v12, v15
	v_cvt_f32_f16_e32 v15, v15
	v_lshrrev_b32_e32 v6, 2, v6
	s_or_b64 vcc, s[0:1], vcc
	v_addc_co_u32_e32 v6, vcc, 0, v6, vcc
	v_cmp_gt_i32_e32 vcc, 31, v8
	v_cvt_f64_f32_e32 v[28:29], v15
	v_cndmask_b32_e32 v6, v0, v6, vcc
	v_cmp_ne_u32_e32 vcc, 0, v4
	v_cndmask_b32_e64 v4, 0, 1, vcc
	v_lshl_or_b32 v4, v4, 9, v0
	v_cmp_eq_u32_e32 vcc, s10, v8
	v_cndmask_b32_e32 v4, v6, v4, vcc
	v_lshrrev_b32_e32 v6, 16, v14
	v_mul_f64 v[14:15], v[28:29], s[2:3]
	v_and_or_b32 v4, v6, s11, v4
	v_and_b32_e32 v2, 0xffff, v2
	v_lshl_or_b32 v2, v4, 16, v2
	v_mov_b32_e32 v4, s4
	v_add_co_u32_e32 v16, vcc, s5, v16
	v_addc_co_u32_e32 v17, vcc, v17, v4, vcc
	global_store_dword v[16:17], v2, off
	v_and_or_b32 v2, v15, s6, v14
	v_cmp_ne_u32_e32 vcc, 0, v2
	v_cndmask_b32_e64 v2, 0, 1, vcc
	v_lshrrev_b32_e32 v4, 8, v15
	v_bfe_u32 v6, v15, 20, 11
	v_mul_f16_sdwa v12, v27, v12 dst_sel:DWORD dst_unused:UNUSED_PAD src0_sel:WORD_1 src1_sel:DWORD
	v_and_or_b32 v2, v4, s7, v2
	v_sub_u32_e32 v8, 0x3f1, v6
	v_fma_f16 v10, v27, v10, -v12
	v_or_b32_e32 v4, 0x1000, v2
	v_med3_i32 v8, v8, 0, 13
	v_cvt_f32_f16_e32 v10, v10
	v_lshrrev_b32_e32 v14, v8, v4
	v_lshlrev_b32_e32 v8, v8, v14
	v_cmp_ne_u32_e32 vcc, v8, v4
	v_cndmask_b32_e64 v4, 0, 1, vcc
	v_add_u32_e32 v6, 0xfffffc10, v6
	v_cvt_f64_f32_e32 v[27:28], v10
	v_or_b32_e32 v4, v14, v4
	v_lshl_or_b32 v8, v6, 12, v2
	v_cmp_gt_i32_e32 vcc, 1, v6
	v_cndmask_b32_e32 v4, v8, v4, vcc
	v_and_b32_e32 v8, 7, v4
	v_cmp_lt_i32_e32 vcc, 5, v8
	v_cmp_eq_u32_e64 s[0:1], 3, v8
	v_mul_f64 v[27:28], v[27:28], s[2:3]
	v_lshrrev_b32_e32 v4, 2, v4
	s_or_b64 vcc, s[0:1], vcc
	v_addc_co_u32_e32 v4, vcc, 0, v4, vcc
	v_cmp_gt_i32_e32 vcc, 31, v6
	v_cndmask_b32_e32 v4, v0, v4, vcc
	v_cmp_ne_u32_e32 vcc, 0, v2
	v_cndmask_b32_e64 v2, 0, 1, vcc
	v_lshl_or_b32 v2, v2, 9, v0
	v_cmp_eq_u32_e32 vcc, s10, v6
	v_cndmask_b32_e32 v2, v4, v2, vcc
	v_lshrrev_b32_e32 v4, 16, v15
	v_and_or_b32 v2, v4, s11, v2
	v_and_or_b32 v4, v28, s6, v27
	v_cmp_ne_u32_e32 vcc, 0, v4
	v_cndmask_b32_e64 v4, 0, 1, vcc
	v_lshrrev_b32_e32 v6, 8, v28
	v_bfe_u32 v8, v28, 20, 11
	v_and_or_b32 v4, v6, s7, v4
	v_sub_u32_e32 v10, 0x3f1, v8
	v_or_b32_e32 v6, 0x1000, v4
	v_med3_i32 v10, v10, 0, 13
	v_lshrrev_b32_e32 v12, v10, v6
	v_lshlrev_b32_e32 v10, v10, v12
	v_cmp_ne_u32_e32 vcc, v10, v6
	v_cndmask_b32_e64 v6, 0, 1, vcc
	v_add_u32_e32 v8, 0xfffffc10, v8
	v_or_b32_e32 v6, v12, v6
	v_lshl_or_b32 v10, v8, 12, v4
	v_cmp_gt_i32_e32 vcc, 1, v8
	v_cndmask_b32_e32 v6, v10, v6, vcc
	v_and_b32_e32 v10, 7, v6
	v_cmp_lt_i32_e32 vcc, 5, v10
	v_cmp_eq_u32_e64 s[0:1], 3, v10
	v_lshrrev_b32_e32 v10, 16, v1
	v_mul_f16_sdwa v12, v26, v10 dst_sel:DWORD dst_unused:UNUSED_PAD src0_sel:WORD_1 src1_sel:DWORD
	v_fma_f16 v12, v26, v1, v12
	v_cvt_f32_f16_e32 v12, v12
	v_lshrrev_b32_e32 v6, 2, v6
	s_or_b64 vcc, s[0:1], vcc
	v_addc_co_u32_e32 v6, vcc, 0, v6, vcc
	v_cvt_f64_f32_e32 v[14:15], v12
	v_cmp_gt_i32_e32 vcc, 31, v8
	v_cndmask_b32_e32 v6, v0, v6, vcc
	v_cmp_ne_u32_e32 vcc, 0, v4
	v_mul_f64 v[14:15], v[14:15], s[2:3]
	v_cndmask_b32_e64 v4, 0, 1, vcc
	v_lshl_or_b32 v4, v4, 9, v0
	v_cmp_eq_u32_e32 vcc, s10, v8
	v_cndmask_b32_e32 v4, v6, v4, vcc
	v_lshrrev_b32_e32 v6, 16, v28
	v_and_or_b32 v4, v6, s11, v4
	v_and_b32_e32 v2, 0xffff, v2
	v_lshl_or_b32 v2, v4, 16, v2
	v_mov_b32_e32 v4, s4
	v_add_co_u32_e32 v16, vcc, s5, v16
	v_addc_co_u32_e32 v17, vcc, v17, v4, vcc
	global_store_dword v[16:17], v2, off
	v_and_or_b32 v2, v15, s6, v14
	v_cmp_ne_u32_e32 vcc, 0, v2
	v_cndmask_b32_e64 v2, 0, 1, vcc
	v_lshrrev_b32_e32 v4, 8, v15
	v_bfe_u32 v6, v15, 20, 11
	v_and_or_b32 v4, v4, s7, v2
	v_sub_u32_e32 v8, 0x3f1, v6
	v_or_b32_e32 v2, 0x1000, v4
	v_med3_i32 v8, v8, 0, 13
	v_lshrrev_b32_e32 v12, v8, v2
	v_lshlrev_b32_e32 v8, v8, v12
	v_mul_f16_sdwa v1, v26, v1 dst_sel:DWORD dst_unused:UNUSED_PAD src0_sel:WORD_1 src1_sel:DWORD
	v_cmp_ne_u32_e32 vcc, v8, v2
	v_fma_f16 v1, v26, v10, -v1
	v_cndmask_b32_e64 v2, 0, 1, vcc
	v_add_u32_e32 v6, 0xfffffc10, v6
	v_cvt_f32_f16_e32 v1, v1
	v_or_b32_e32 v2, v12, v2
	v_lshl_or_b32 v8, v6, 12, v4
	v_cmp_gt_i32_e32 vcc, 1, v6
	v_cndmask_b32_e32 v2, v8, v2, vcc
	v_and_b32_e32 v8, 7, v2
	v_cmp_lt_i32_e32 vcc, 5, v8
	v_cmp_eq_u32_e64 s[0:1], 3, v8
	v_lshrrev_b32_e32 v8, 2, v2
	v_cvt_f64_f32_e32 v[1:2], v1
	s_or_b64 vcc, s[0:1], vcc
	v_addc_co_u32_e32 v8, vcc, 0, v8, vcc
	v_mul_f64 v[1:2], v[1:2], s[2:3]
	v_cmp_gt_i32_e32 vcc, 31, v6
	v_cndmask_b32_e32 v8, v0, v8, vcc
	v_cmp_ne_u32_e32 vcc, 0, v4
	v_cndmask_b32_e64 v4, 0, 1, vcc
	v_lshl_or_b32 v4, v4, 9, v0
	v_cmp_eq_u32_e32 vcc, s10, v6
	v_cndmask_b32_e32 v4, v8, v4, vcc
	v_and_or_b32 v1, v2, s6, v1
	v_lshrrev_b32_e32 v6, 16, v15
	v_cmp_ne_u32_e32 vcc, 0, v1
	v_and_or_b32 v4, v6, s11, v4
	v_cndmask_b32_e64 v1, 0, 1, vcc
	v_lshrrev_b32_e32 v6, 8, v2
	v_bfe_u32 v8, v2, 20, 11
	v_and_or_b32 v1, v6, s7, v1
	v_sub_u32_e32 v10, 0x3f1, v8
	v_or_b32_e32 v6, 0x1000, v1
	v_med3_i32 v10, v10, 0, 13
	v_lshrrev_b32_e32 v12, v10, v6
	v_lshlrev_b32_e32 v10, v10, v12
	v_cmp_ne_u32_e32 vcc, v10, v6
	v_cndmask_b32_e64 v6, 0, 1, vcc
	v_add_u32_e32 v8, 0xfffffc10, v8
	v_or_b32_e32 v6, v12, v6
	v_lshl_or_b32 v10, v8, 12, v1
	v_cmp_gt_i32_e32 vcc, 1, v8
	v_cndmask_b32_e32 v6, v10, v6, vcc
	v_and_b32_e32 v10, 7, v6
	v_cmp_lt_i32_e32 vcc, 5, v10
	v_cmp_eq_u32_e64 s[0:1], 3, v10
	v_lshrrev_b32_e32 v10, 16, v3
	v_mul_f16_sdwa v12, v25, v10 dst_sel:DWORD dst_unused:UNUSED_PAD src0_sel:WORD_1 src1_sel:DWORD
	v_fma_f16 v12, v25, v3, v12
	v_cvt_f32_f16_e32 v12, v12
	v_lshrrev_b32_e32 v6, 2, v6
	s_or_b64 vcc, s[0:1], vcc
	v_addc_co_u32_e32 v6, vcc, 0, v6, vcc
	v_cmp_gt_i32_e32 vcc, 31, v8
	v_cndmask_b32_e32 v6, v0, v6, vcc
	v_cmp_ne_u32_e32 vcc, 0, v1
	v_cvt_f64_f32_e32 v[14:15], v12
	v_cndmask_b32_e64 v1, 0, 1, vcc
	v_lshl_or_b32 v1, v1, 9, v0
	v_cmp_eq_u32_e32 vcc, s10, v8
	v_cndmask_b32_e32 v1, v6, v1, vcc
	v_lshrrev_b32_e32 v2, 16, v2
	v_and_or_b32 v6, v2, s11, v1
	v_mul_f64 v[1:2], v[14:15], s[2:3]
	v_mad_u64_u32 v[14:15], s[0:1], s8, v24, v[16:17]
	s_mul_i32 s0, s9, 0xfffff794
	v_and_b32_e32 v4, 0xffff, v4
	s_sub_i32 s0, s0, s8
	v_lshl_or_b32 v4, v6, 16, v4
	v_add_u32_e32 v15, s0, v15
	v_and_or_b32 v1, v2, s6, v1
	v_cmp_ne_u32_e32 vcc, 0, v1
	global_store_dword v[14:15], v4, off
	v_cndmask_b32_e64 v1, 0, 1, vcc
	v_lshrrev_b32_e32 v4, 8, v2
	v_bfe_u32 v6, v2, 20, 11
	v_and_or_b32 v1, v4, s7, v1
	v_sub_u32_e32 v8, 0x3f1, v6
	v_or_b32_e32 v4, 0x1000, v1
	v_med3_i32 v8, v8, 0, 13
	v_lshrrev_b32_e32 v12, v8, v4
	v_lshlrev_b32_e32 v8, v8, v12
	v_mul_f16_sdwa v3, v25, v3 dst_sel:DWORD dst_unused:UNUSED_PAD src0_sel:WORD_1 src1_sel:DWORD
	v_cmp_ne_u32_e32 vcc, v8, v4
	v_fma_f16 v3, v25, v10, -v3
	v_cndmask_b32_e64 v4, 0, 1, vcc
	v_add_u32_e32 v6, 0xfffffc10, v6
	v_cvt_f32_f16_e32 v3, v3
	v_or_b32_e32 v4, v12, v4
	v_lshl_or_b32 v8, v6, 12, v1
	v_cmp_gt_i32_e32 vcc, 1, v6
	v_cndmask_b32_e32 v4, v8, v4, vcc
	v_and_b32_e32 v8, 7, v4
	v_cmp_lt_i32_e32 vcc, 5, v8
	v_cmp_eq_u32_e64 s[0:1], 3, v8
	v_lshrrev_b32_e32 v8, 2, v4
	v_cvt_f64_f32_e32 v[3:4], v3
	s_or_b64 vcc, s[0:1], vcc
	v_addc_co_u32_e32 v8, vcc, 0, v8, vcc
	v_mul_f64 v[3:4], v[3:4], s[2:3]
	v_cmp_gt_i32_e32 vcc, 31, v6
	v_cndmask_b32_e32 v8, v0, v8, vcc
	v_cmp_ne_u32_e32 vcc, 0, v1
	v_cndmask_b32_e64 v1, 0, 1, vcc
	v_lshl_or_b32 v1, v1, 9, v0
	v_cmp_eq_u32_e32 vcc, s10, v6
	v_cndmask_b32_e32 v1, v8, v1, vcc
	v_lshrrev_b32_e32 v2, 16, v2
	v_and_or_b32 v6, v2, s11, v1
	v_and_or_b32 v1, v4, s6, v3
	v_cmp_ne_u32_e32 vcc, 0, v1
	v_cndmask_b32_e64 v1, 0, 1, vcc
	v_lshrrev_b32_e32 v2, 8, v4
	v_bfe_u32 v3, v4, 20, 11
	v_and_or_b32 v1, v2, s7, v1
	v_sub_u32_e32 v8, 0x3f1, v3
	v_or_b32_e32 v2, 0x1000, v1
	v_med3_i32 v8, v8, 0, 13
	v_lshrrev_b32_e32 v10, v8, v2
	v_lshlrev_b32_e32 v8, v8, v10
	v_cmp_ne_u32_e32 vcc, v8, v2
	v_cndmask_b32_e64 v2, 0, 1, vcc
	v_add_u32_e32 v3, 0xfffffc10, v3
	v_or_b32_e32 v2, v10, v2
	v_lshl_or_b32 v8, v3, 12, v1
	v_cmp_gt_i32_e32 vcc, 1, v3
	v_cndmask_b32_e32 v2, v8, v2, vcc
	v_and_b32_e32 v8, 7, v2
	v_cmp_lt_i32_e32 vcc, 5, v8
	v_cmp_eq_u32_e64 s[0:1], 3, v8
	v_lshrrev_b32_e32 v8, 16, v5
	v_lshrrev_b32_e32 v2, 2, v2
	s_or_b64 vcc, s[0:1], vcc
	v_mul_f16_sdwa v10, v23, v8 dst_sel:DWORD dst_unused:UNUSED_PAD src0_sel:WORD_1 src1_sel:DWORD
	v_addc_co_u32_e32 v2, vcc, 0, v2, vcc
	v_fma_f16 v10, v23, v5, v10
	v_cmp_gt_i32_e32 vcc, 31, v3
	v_cvt_f32_f16_e32 v10, v10
	v_cndmask_b32_e32 v2, v0, v2, vcc
	v_cmp_ne_u32_e32 vcc, 0, v1
	v_cndmask_b32_e64 v1, 0, 1, vcc
	v_lshl_or_b32 v1, v1, 9, v0
	v_cmp_eq_u32_e32 vcc, s10, v3
	v_cndmask_b32_e32 v3, v2, v1, vcc
	v_cvt_f64_f32_e32 v[1:2], v10
	v_lshrrev_b32_e32 v4, 16, v4
	v_and_or_b32 v3, v4, s11, v3
	v_and_b32_e32 v4, 0xffff, v6
	v_mul_f64 v[1:2], v[1:2], s[2:3]
	v_lshl_or_b32 v6, v3, 16, v4
	v_mov_b32_e32 v4, s4
	v_add_co_u32_e32 v3, vcc, s5, v14
	v_addc_co_u32_e32 v4, vcc, v15, v4, vcc
	global_store_dword v[3:4], v6, off
	v_and_or_b32 v1, v2, s6, v1
	v_cmp_ne_u32_e32 vcc, 0, v1
	v_cndmask_b32_e64 v1, 0, 1, vcc
	v_lshrrev_b32_e32 v6, 8, v2
	v_bfe_u32 v10, v2, 20, 11
	v_and_or_b32 v1, v6, s7, v1
	v_sub_u32_e32 v12, 0x3f1, v10
	v_or_b32_e32 v6, 0x1000, v1
	v_med3_i32 v12, v12, 0, 13
	v_lshrrev_b32_e32 v14, v12, v6
	v_mul_f16_sdwa v5, v23, v5 dst_sel:DWORD dst_unused:UNUSED_PAD src0_sel:WORD_1 src1_sel:DWORD
	v_lshlrev_b32_e32 v12, v12, v14
	v_fma_f16 v5, v23, v8, -v5
	v_cmp_ne_u32_e32 vcc, v12, v6
	v_cvt_f32_f16_e32 v5, v5
	v_cndmask_b32_e64 v6, 0, 1, vcc
	v_add_u32_e32 v10, 0xfffffc10, v10
	v_or_b32_e32 v6, v14, v6
	v_lshl_or_b32 v12, v10, 12, v1
	v_cmp_gt_i32_e32 vcc, 1, v10
	v_cndmask_b32_e32 v6, v12, v6, vcc
	v_and_b32_e32 v12, 7, v6
	v_lshrrev_b32_e32 v8, 2, v6
	v_cvt_f64_f32_e32 v[5:6], v5
	v_cmp_lt_i32_e32 vcc, 5, v12
	v_cmp_eq_u32_e64 s[0:1], 3, v12
	s_or_b64 vcc, s[0:1], vcc
	v_mul_f64 v[5:6], v[5:6], s[2:3]
	v_addc_co_u32_e32 v8, vcc, 0, v8, vcc
	v_cmp_gt_i32_e32 vcc, 31, v10
	v_cndmask_b32_e32 v8, v0, v8, vcc
	v_cmp_ne_u32_e32 vcc, 0, v1
	v_cndmask_b32_e64 v1, 0, 1, vcc
	v_lshl_or_b32 v1, v1, 9, v0
	v_cmp_eq_u32_e32 vcc, s10, v10
	v_cndmask_b32_e32 v1, v8, v1, vcc
	v_lshrrev_b32_e32 v2, 16, v2
	v_and_or_b32 v8, v2, s11, v1
	v_and_or_b32 v1, v6, s6, v5
	v_cmp_ne_u32_e32 vcc, 0, v1
	v_cndmask_b32_e64 v1, 0, 1, vcc
	v_lshrrev_b32_e32 v2, 8, v6
	v_bfe_u32 v5, v6, 20, 11
	v_and_or_b32 v1, v2, s7, v1
	v_sub_u32_e32 v10, 0x3f1, v5
	v_or_b32_e32 v2, 0x1000, v1
	v_med3_i32 v10, v10, 0, 13
	v_lshrrev_b32_e32 v12, v10, v2
	v_lshlrev_b32_e32 v10, v10, v12
	v_cmp_ne_u32_e32 vcc, v10, v2
	v_cndmask_b32_e64 v2, 0, 1, vcc
	v_add_u32_e32 v5, 0xfffffc10, v5
	v_or_b32_e32 v2, v12, v2
	v_lshl_or_b32 v10, v5, 12, v1
	v_cmp_gt_i32_e32 vcc, 1, v5
	v_cndmask_b32_e32 v2, v10, v2, vcc
	v_and_b32_e32 v10, 7, v2
	v_cmp_lt_i32_e32 vcc, 5, v10
	v_cmp_eq_u32_e64 s[0:1], 3, v10
	v_lshrrev_b32_e32 v10, 16, v7
	v_lshrrev_b32_e32 v2, 2, v2
	s_or_b64 vcc, s[0:1], vcc
	v_mul_f16_sdwa v12, v21, v10 dst_sel:DWORD dst_unused:UNUSED_PAD src0_sel:WORD_1 src1_sel:DWORD
	v_addc_co_u32_e32 v2, vcc, 0, v2, vcc
	v_fma_f16 v12, v21, v7, v12
	v_cmp_gt_i32_e32 vcc, 31, v5
	v_cvt_f32_f16_e32 v12, v12
	v_cndmask_b32_e32 v2, v0, v2, vcc
	v_cmp_ne_u32_e32 vcc, 0, v1
	v_cndmask_b32_e64 v1, 0, 1, vcc
	v_lshl_or_b32 v1, v1, 9, v0
	v_cmp_eq_u32_e32 vcc, s10, v5
	v_cndmask_b32_e32 v5, v2, v1, vcc
	v_cvt_f64_f32_e32 v[1:2], v12
	v_lshrrev_b32_e32 v6, 16, v6
	v_and_or_b32 v5, v6, s11, v5
	v_and_b32_e32 v6, 0xffff, v8
	v_mul_f64 v[1:2], v[1:2], s[2:3]
	v_lshl_or_b32 v5, v5, 16, v6
	v_mov_b32_e32 v6, s4
	v_add_co_u32_e32 v3, vcc, s5, v3
	v_addc_co_u32_e32 v4, vcc, v4, v6, vcc
	global_store_dword v[3:4], v5, off
	v_and_or_b32 v1, v2, s6, v1
	v_cmp_ne_u32_e32 vcc, 0, v1
	v_cndmask_b32_e64 v1, 0, 1, vcc
	v_lshrrev_b32_e32 v5, 8, v2
	v_bfe_u32 v6, v2, 20, 11
	v_and_or_b32 v1, v5, s7, v1
	v_sub_u32_e32 v8, 0x3f1, v6
	v_or_b32_e32 v5, 0x1000, v1
	v_med3_i32 v8, v8, 0, 13
	v_lshrrev_b32_e32 v12, v8, v5
	v_lshlrev_b32_e32 v8, v8, v12
	v_mul_f16_sdwa v7, v21, v7 dst_sel:DWORD dst_unused:UNUSED_PAD src0_sel:WORD_1 src1_sel:DWORD
	v_cmp_ne_u32_e32 vcc, v8, v5
	v_fma_f16 v7, v21, v10, -v7
	v_cndmask_b32_e64 v5, 0, 1, vcc
	v_add_u32_e32 v8, 0xfffffc10, v6
	v_cvt_f32_f16_e32 v7, v7
	v_or_b32_e32 v5, v12, v5
	v_lshl_or_b32 v6, v8, 12, v1
	v_cmp_gt_i32_e32 vcc, 1, v8
	v_cndmask_b32_e32 v5, v6, v5, vcc
	v_and_b32_e32 v6, 7, v5
	v_cmp_lt_i32_e32 vcc, 5, v6
	v_cmp_eq_u32_e64 s[0:1], 3, v6
	v_lshrrev_b32_e32 v10, 2, v5
	v_cvt_f64_f32_e32 v[5:6], v7
	s_or_b64 vcc, s[0:1], vcc
	v_addc_co_u32_e32 v7, vcc, 0, v10, vcc
	v_mul_f64 v[5:6], v[5:6], s[2:3]
	v_cmp_gt_i32_e32 vcc, 31, v8
	v_cndmask_b32_e32 v7, v0, v7, vcc
	v_cmp_ne_u32_e32 vcc, 0, v1
	v_cndmask_b32_e64 v1, 0, 1, vcc
	v_lshl_or_b32 v1, v1, 9, v0
	v_cmp_eq_u32_e32 vcc, s10, v8
	v_cndmask_b32_e32 v1, v7, v1, vcc
	v_lshrrev_b32_e32 v2, 16, v2
	v_and_or_b32 v7, v2, s11, v1
	v_and_or_b32 v1, v6, s6, v5
	v_cmp_ne_u32_e32 vcc, 0, v1
	v_cndmask_b32_e64 v1, 0, 1, vcc
	v_lshrrev_b32_e32 v2, 8, v6
	v_bfe_u32 v5, v6, 20, 11
	v_and_or_b32 v1, v2, s7, v1
	v_sub_u32_e32 v8, 0x3f1, v5
	v_or_b32_e32 v2, 0x1000, v1
	v_med3_i32 v8, v8, 0, 13
	v_lshrrev_b32_e32 v10, v8, v2
	v_lshlrev_b32_e32 v8, v8, v10
	v_cmp_ne_u32_e32 vcc, v8, v2
	v_cndmask_b32_e64 v2, 0, 1, vcc
	v_add_u32_e32 v5, 0xfffffc10, v5
	v_or_b32_e32 v2, v10, v2
	v_lshl_or_b32 v8, v5, 12, v1
	v_cmp_gt_i32_e32 vcc, 1, v5
	v_cndmask_b32_e32 v2, v8, v2, vcc
	v_and_b32_e32 v8, 7, v2
	v_cmp_lt_i32_e32 vcc, 5, v8
	v_cmp_eq_u32_e64 s[0:1], 3, v8
	v_lshrrev_b32_e32 v8, 16, v9
	v_lshrrev_b32_e32 v2, 2, v2
	s_or_b64 vcc, s[0:1], vcc
	v_mul_f16_sdwa v10, v22, v8 dst_sel:DWORD dst_unused:UNUSED_PAD src0_sel:WORD_1 src1_sel:DWORD
	v_addc_co_u32_e32 v2, vcc, 0, v2, vcc
	v_fma_f16 v10, v22, v9, v10
	v_cmp_gt_i32_e32 vcc, 31, v5
	v_cvt_f32_f16_e32 v10, v10
	v_cndmask_b32_e32 v2, v0, v2, vcc
	v_cmp_ne_u32_e32 vcc, 0, v1
	v_cndmask_b32_e64 v1, 0, 1, vcc
	v_lshl_or_b32 v1, v1, 9, v0
	v_cmp_eq_u32_e32 vcc, s10, v5
	v_cndmask_b32_e32 v5, v2, v1, vcc
	v_cvt_f64_f32_e32 v[1:2], v10
	v_lshrrev_b32_e32 v6, 16, v6
	v_and_or_b32 v5, v6, s11, v5
	v_and_b32_e32 v6, 0xffff, v7
	v_mul_f64 v[1:2], v[1:2], s[2:3]
	v_lshl_or_b32 v5, v5, 16, v6
	v_mov_b32_e32 v6, s4
	v_add_co_u32_e32 v3, vcc, s5, v3
	v_addc_co_u32_e32 v4, vcc, v4, v6, vcc
	global_store_dword v[3:4], v5, off
	v_and_or_b32 v1, v2, s6, v1
	v_cmp_ne_u32_e32 vcc, 0, v1
	v_cndmask_b32_e64 v1, 0, 1, vcc
	v_lshrrev_b32_e32 v5, 8, v2
	v_bfe_u32 v6, v2, 20, 11
	v_and_or_b32 v1, v5, s7, v1
	v_sub_u32_e32 v7, 0x3f1, v6
	v_or_b32_e32 v5, 0x1000, v1
	v_med3_i32 v7, v7, 0, 13
	v_lshrrev_b32_e32 v10, v7, v5
	v_lshlrev_b32_e32 v7, v7, v10
	v_mul_f16_sdwa v9, v22, v9 dst_sel:DWORD dst_unused:UNUSED_PAD src0_sel:WORD_1 src1_sel:DWORD
	v_cmp_ne_u32_e32 vcc, v7, v5
	v_fma_f16 v8, v22, v8, -v9
	v_cndmask_b32_e64 v5, 0, 1, vcc
	v_add_u32_e32 v7, 0xfffffc10, v6
	v_cvt_f32_f16_e32 v8, v8
	v_or_b32_e32 v5, v10, v5
	v_lshl_or_b32 v6, v7, 12, v1
	v_cmp_gt_i32_e32 vcc, 1, v7
	v_cndmask_b32_e32 v5, v6, v5, vcc
	v_and_b32_e32 v6, 7, v5
	v_cmp_lt_i32_e32 vcc, 5, v6
	v_cmp_eq_u32_e64 s[0:1], 3, v6
	v_lshrrev_b32_e32 v9, 2, v5
	v_cvt_f64_f32_e32 v[5:6], v8
	s_or_b64 vcc, s[0:1], vcc
	v_addc_co_u32_e32 v8, vcc, 0, v9, vcc
	v_mul_f64 v[5:6], v[5:6], s[2:3]
	v_cmp_gt_i32_e32 vcc, 31, v7
	v_cndmask_b32_e32 v8, v0, v8, vcc
	v_cmp_ne_u32_e32 vcc, 0, v1
	v_cndmask_b32_e64 v1, 0, 1, vcc
	v_lshl_or_b32 v1, v1, 9, v0
	v_cmp_eq_u32_e32 vcc, s10, v7
	v_cndmask_b32_e32 v1, v8, v1, vcc
	v_lshrrev_b32_e32 v2, 16, v2
	v_and_or_b32 v7, v2, s11, v1
	v_and_or_b32 v1, v6, s6, v5
	v_cmp_ne_u32_e32 vcc, 0, v1
	v_cndmask_b32_e64 v1, 0, 1, vcc
	v_lshrrev_b32_e32 v2, 8, v6
	v_bfe_u32 v5, v6, 20, 11
	v_and_or_b32 v1, v2, s7, v1
	v_sub_u32_e32 v8, 0x3f1, v5
	v_or_b32_e32 v2, 0x1000, v1
	v_med3_i32 v8, v8, 0, 13
	v_lshrrev_b32_e32 v9, v8, v2
	v_lshlrev_b32_e32 v8, v8, v9
	v_cmp_ne_u32_e32 vcc, v8, v2
	v_cndmask_b32_e64 v2, 0, 1, vcc
	v_add_u32_e32 v5, 0xfffffc10, v5
	v_or_b32_e32 v2, v9, v2
	v_lshl_or_b32 v8, v5, 12, v1
	v_cmp_gt_i32_e32 vcc, 1, v5
	v_cndmask_b32_e32 v2, v8, v2, vcc
	v_and_b32_e32 v8, 7, v2
	v_cmp_lt_i32_e32 vcc, 5, v8
	v_cmp_eq_u32_e64 s[0:1], 3, v8
	v_lshrrev_b32_e32 v8, 16, v11
	v_lshrrev_b32_e32 v2, 2, v2
	s_or_b64 vcc, s[0:1], vcc
	v_mul_f16_sdwa v9, v20, v8 dst_sel:DWORD dst_unused:UNUSED_PAD src0_sel:WORD_1 src1_sel:DWORD
	v_addc_co_u32_e32 v2, vcc, 0, v2, vcc
	v_fma_f16 v9, v20, v11, v9
	v_cmp_gt_i32_e32 vcc, 31, v5
	v_cvt_f32_f16_e32 v9, v9
	v_cndmask_b32_e32 v2, v0, v2, vcc
	v_cmp_ne_u32_e32 vcc, 0, v1
	v_cndmask_b32_e64 v1, 0, 1, vcc
	v_lshl_or_b32 v1, v1, 9, v0
	v_cmp_eq_u32_e32 vcc, s10, v5
	v_cndmask_b32_e32 v5, v2, v1, vcc
	v_cvt_f64_f32_e32 v[1:2], v9
	v_lshrrev_b32_e32 v6, 16, v6
	v_and_or_b32 v5, v6, s11, v5
	v_and_b32_e32 v6, 0xffff, v7
	v_mul_f64 v[1:2], v[1:2], s[2:3]
	v_lshl_or_b32 v5, v5, 16, v6
	v_mov_b32_e32 v6, s4
	v_add_co_u32_e32 v3, vcc, s5, v3
	v_addc_co_u32_e32 v4, vcc, v4, v6, vcc
	global_store_dword v[3:4], v5, off
	v_and_or_b32 v1, v2, s6, v1
	v_cmp_ne_u32_e32 vcc, 0, v1
	v_cndmask_b32_e64 v1, 0, 1, vcc
	v_lshrrev_b32_e32 v5, 8, v2
	v_bfe_u32 v6, v2, 20, 11
	v_and_or_b32 v1, v5, s7, v1
	v_sub_u32_e32 v7, 0x3f1, v6
	v_or_b32_e32 v5, 0x1000, v1
	v_med3_i32 v7, v7, 0, 13
	v_lshrrev_b32_e32 v9, v7, v5
	v_lshlrev_b32_e32 v7, v7, v9
	v_cmp_ne_u32_e32 vcc, v7, v5
	v_cndmask_b32_e64 v5, 0, 1, vcc
	v_or_b32_e32 v5, v9, v5
	v_mul_f16_sdwa v9, v20, v11 dst_sel:DWORD dst_unused:UNUSED_PAD src0_sel:WORD_1 src1_sel:DWORD
	v_fma_f16 v8, v20, v8, -v9
	v_add_u32_e32 v7, 0xfffffc10, v6
	v_cvt_f32_f16_e32 v8, v8
	v_lshl_or_b32 v6, v7, 12, v1
	v_cmp_gt_i32_e32 vcc, 1, v7
	v_cndmask_b32_e32 v5, v6, v5, vcc
	v_and_b32_e32 v6, 7, v5
	v_cmp_lt_i32_e32 vcc, 5, v6
	v_cmp_eq_u32_e64 s[0:1], 3, v6
	v_lshrrev_b32_e32 v9, 2, v5
	v_cvt_f64_f32_e32 v[5:6], v8
	s_or_b64 vcc, s[0:1], vcc
	v_addc_co_u32_e32 v8, vcc, 0, v9, vcc
	v_mul_f64 v[5:6], v[5:6], s[2:3]
	v_cmp_gt_i32_e32 vcc, 31, v7
	v_cndmask_b32_e32 v8, v0, v8, vcc
	v_cmp_ne_u32_e32 vcc, 0, v1
	v_cndmask_b32_e64 v1, 0, 1, vcc
	v_lshl_or_b32 v1, v1, 9, v0
	v_cmp_eq_u32_e32 vcc, s10, v7
	v_cndmask_b32_e32 v1, v8, v1, vcc
	v_lshrrev_b32_e32 v2, 16, v2
	v_and_or_b32 v7, v2, s11, v1
	v_and_or_b32 v1, v6, s6, v5
	v_cmp_ne_u32_e32 vcc, 0, v1
	v_cndmask_b32_e64 v1, 0, 1, vcc
	v_lshrrev_b32_e32 v2, 8, v6
	v_bfe_u32 v5, v6, 20, 11
	v_and_or_b32 v1, v2, s7, v1
	v_sub_u32_e32 v8, 0x3f1, v5
	v_or_b32_e32 v2, 0x1000, v1
	v_med3_i32 v8, v8, 0, 13
	v_lshrrev_b32_e32 v9, v8, v2
	v_lshlrev_b32_e32 v8, v8, v9
	v_cmp_ne_u32_e32 vcc, v8, v2
	v_cndmask_b32_e64 v2, 0, 1, vcc
	v_add_u32_e32 v5, 0xfffffc10, v5
	v_or_b32_e32 v2, v9, v2
	v_lshl_or_b32 v8, v5, 12, v1
	v_cmp_gt_i32_e32 vcc, 1, v5
	v_cndmask_b32_e32 v2, v8, v2, vcc
	v_and_b32_e32 v8, 7, v2
	v_cmp_lt_i32_e32 vcc, 5, v8
	v_cmp_eq_u32_e64 s[0:1], 3, v8
	v_lshrrev_b32_e32 v8, 16, v13
	v_lshrrev_b32_e32 v2, 2, v2
	s_or_b64 vcc, s[0:1], vcc
	v_mul_f16_sdwa v9, v19, v8 dst_sel:DWORD dst_unused:UNUSED_PAD src0_sel:WORD_1 src1_sel:DWORD
	v_addc_co_u32_e32 v2, vcc, 0, v2, vcc
	v_fma_f16 v9, v19, v13, v9
	v_cmp_gt_i32_e32 vcc, 31, v5
	v_cvt_f32_f16_e32 v9, v9
	v_cndmask_b32_e32 v2, v0, v2, vcc
	v_cmp_ne_u32_e32 vcc, 0, v1
	v_cndmask_b32_e64 v1, 0, 1, vcc
	v_lshl_or_b32 v1, v1, 9, v0
	v_cmp_eq_u32_e32 vcc, s10, v5
	v_cndmask_b32_e32 v5, v2, v1, vcc
	v_cvt_f64_f32_e32 v[1:2], v9
	v_lshrrev_b32_e32 v6, 16, v6
	v_and_or_b32 v5, v6, s11, v5
	v_and_b32_e32 v6, 0xffff, v7
	v_mul_f64 v[1:2], v[1:2], s[2:3]
	v_lshl_or_b32 v5, v5, 16, v6
	v_mov_b32_e32 v6, s4
	v_add_co_u32_e32 v3, vcc, s5, v3
	v_addc_co_u32_e32 v4, vcc, v4, v6, vcc
	global_store_dword v[3:4], v5, off
	v_and_or_b32 v1, v2, s6, v1
	v_cmp_ne_u32_e32 vcc, 0, v1
	v_cndmask_b32_e64 v1, 0, 1, vcc
	v_lshrrev_b32_e32 v5, 8, v2
	v_bfe_u32 v6, v2, 20, 11
	v_and_or_b32 v1, v5, s7, v1
	v_sub_u32_e32 v7, 0x3f1, v6
	v_or_b32_e32 v5, 0x1000, v1
	v_med3_i32 v7, v7, 0, 13
	v_lshrrev_b32_e32 v9, v7, v5
	v_lshlrev_b32_e32 v7, v7, v9
	v_cmp_ne_u32_e32 vcc, v7, v5
	v_cndmask_b32_e64 v5, 0, 1, vcc
	v_or_b32_e32 v5, v9, v5
	v_mul_f16_sdwa v9, v19, v13 dst_sel:DWORD dst_unused:UNUSED_PAD src0_sel:WORD_1 src1_sel:DWORD
	v_fma_f16 v8, v19, v8, -v9
	v_add_u32_e32 v7, 0xfffffc10, v6
	v_cvt_f32_f16_e32 v8, v8
	v_lshl_or_b32 v6, v7, 12, v1
	v_cmp_gt_i32_e32 vcc, 1, v7
	v_cndmask_b32_e32 v5, v6, v5, vcc
	v_and_b32_e32 v6, 7, v5
	v_cmp_lt_i32_e32 vcc, 5, v6
	v_cmp_eq_u32_e64 s[0:1], 3, v6
	v_lshrrev_b32_e32 v9, 2, v5
	v_cvt_f64_f32_e32 v[5:6], v8
	s_or_b64 vcc, s[0:1], vcc
	v_addc_co_u32_e32 v8, vcc, 0, v9, vcc
	v_mul_f64 v[5:6], v[5:6], s[2:3]
	v_cmp_gt_i32_e32 vcc, 31, v7
	v_cndmask_b32_e32 v8, v0, v8, vcc
	v_cmp_ne_u32_e32 vcc, 0, v1
	v_cndmask_b32_e64 v1, 0, 1, vcc
	v_lshl_or_b32 v1, v1, 9, v0
	v_cmp_eq_u32_e32 vcc, s10, v7
	v_cndmask_b32_e32 v1, v8, v1, vcc
	v_lshrrev_b32_e32 v2, 16, v2
	v_and_or_b32 v1, v2, s11, v1
	v_and_or_b32 v2, v6, s6, v5
	v_cmp_ne_u32_e32 vcc, 0, v2
	v_cndmask_b32_e64 v2, 0, 1, vcc
	v_lshrrev_b32_e32 v5, 8, v6
	v_bfe_u32 v7, v6, 20, 11
	v_and_or_b32 v2, v5, s7, v2
	v_sub_u32_e32 v8, 0x3f1, v7
	v_or_b32_e32 v5, 0x1000, v2
	v_med3_i32 v8, v8, 0, 13
	v_lshrrev_b32_e32 v9, v8, v5
	v_lshlrev_b32_e32 v8, v8, v9
	v_cmp_ne_u32_e32 vcc, v8, v5
	v_cndmask_b32_e64 v5, 0, 1, vcc
	v_add_u32_e32 v7, 0xfffffc10, v7
	v_or_b32_e32 v5, v9, v5
	v_lshl_or_b32 v8, v7, 12, v2
	v_cmp_gt_i32_e32 vcc, 1, v7
	v_cndmask_b32_e32 v5, v8, v5, vcc
	v_and_b32_e32 v8, 7, v5
	v_cmp_lt_i32_e32 vcc, 5, v8
	v_cmp_eq_u32_e64 s[0:1], 3, v8
	v_lshrrev_b32_e32 v5, 2, v5
	s_or_b64 vcc, s[0:1], vcc
	v_addc_co_u32_e32 v5, vcc, 0, v5, vcc
	v_cmp_gt_i32_e32 vcc, 31, v7
	v_cndmask_b32_e32 v5, v0, v5, vcc
	v_cmp_ne_u32_e32 vcc, 0, v2
	v_cndmask_b32_e64 v2, 0, 1, vcc
	v_lshl_or_b32 v0, v2, 9, v0
	v_cmp_eq_u32_e32 vcc, s10, v7
	v_cndmask_b32_e32 v0, v5, v0, vcc
	v_lshrrev_b32_e32 v2, 16, v6
	v_and_or_b32 v0, v2, s11, v0
	v_and_b32_e32 v1, 0xffff, v1
	v_lshl_or_b32 v2, v0, 16, v1
	v_mov_b32_e32 v1, s4
	v_add_co_u32_e32 v0, vcc, s5, v3
	v_addc_co_u32_e32 v1, vcc, v4, v1, vcc
	global_store_dword v[0:1], v2, off
.LBB0_2:
	s_endpgm
	.section	.rodata,"a",@progbits
	.p2align	6, 0x0
	.amdhsa_kernel bluestein_single_fwd_len686_dim1_half_op_CI_CI
		.amdhsa_group_segment_fixed_size 2744
		.amdhsa_private_segment_fixed_size 0
		.amdhsa_kernarg_size 104
		.amdhsa_user_sgpr_count 6
		.amdhsa_user_sgpr_private_segment_buffer 1
		.amdhsa_user_sgpr_dispatch_ptr 0
		.amdhsa_user_sgpr_queue_ptr 0
		.amdhsa_user_sgpr_kernarg_segment_ptr 1
		.amdhsa_user_sgpr_dispatch_id 0
		.amdhsa_user_sgpr_flat_scratch_init 0
		.amdhsa_user_sgpr_private_segment_size 0
		.amdhsa_uses_dynamic_stack 0
		.amdhsa_system_sgpr_private_segment_wavefront_offset 0
		.amdhsa_system_sgpr_workgroup_id_x 1
		.amdhsa_system_sgpr_workgroup_id_y 0
		.amdhsa_system_sgpr_workgroup_id_z 0
		.amdhsa_system_sgpr_workgroup_info 0
		.amdhsa_system_vgpr_workitem_id 0
		.amdhsa_next_free_vgpr 79
		.amdhsa_next_free_sgpr 23
		.amdhsa_reserve_vcc 1
		.amdhsa_reserve_flat_scratch 0
		.amdhsa_float_round_mode_32 0
		.amdhsa_float_round_mode_16_64 0
		.amdhsa_float_denorm_mode_32 3
		.amdhsa_float_denorm_mode_16_64 3
		.amdhsa_dx10_clamp 1
		.amdhsa_ieee_mode 1
		.amdhsa_fp16_overflow 0
		.amdhsa_exception_fp_ieee_invalid_op 0
		.amdhsa_exception_fp_denorm_src 0
		.amdhsa_exception_fp_ieee_div_zero 0
		.amdhsa_exception_fp_ieee_overflow 0
		.amdhsa_exception_fp_ieee_underflow 0
		.amdhsa_exception_fp_ieee_inexact 0
		.amdhsa_exception_int_div_zero 0
	.end_amdhsa_kernel
	.text
.Lfunc_end0:
	.size	bluestein_single_fwd_len686_dim1_half_op_CI_CI, .Lfunc_end0-bluestein_single_fwd_len686_dim1_half_op_CI_CI
                                        ; -- End function
	.section	.AMDGPU.csdata,"",@progbits
; Kernel info:
; codeLenInByte = 19236
; NumSgprs: 27
; NumVgprs: 79
; ScratchSize: 0
; MemoryBound: 0
; FloatMode: 240
; IeeeMode: 1
; LDSByteSize: 2744 bytes/workgroup (compile time only)
; SGPRBlocks: 3
; VGPRBlocks: 19
; NumSGPRsForWavesPerEU: 27
; NumVGPRsForWavesPerEU: 79
; Occupancy: 3
; WaveLimiterHint : 1
; COMPUTE_PGM_RSRC2:SCRATCH_EN: 0
; COMPUTE_PGM_RSRC2:USER_SGPR: 6
; COMPUTE_PGM_RSRC2:TRAP_HANDLER: 0
; COMPUTE_PGM_RSRC2:TGID_X_EN: 1
; COMPUTE_PGM_RSRC2:TGID_Y_EN: 0
; COMPUTE_PGM_RSRC2:TGID_Z_EN: 0
; COMPUTE_PGM_RSRC2:TIDIG_COMP_CNT: 0
	.type	__hip_cuid_290c4387ac7e03d9,@object ; @__hip_cuid_290c4387ac7e03d9
	.section	.bss,"aw",@nobits
	.globl	__hip_cuid_290c4387ac7e03d9
__hip_cuid_290c4387ac7e03d9:
	.byte	0                               ; 0x0
	.size	__hip_cuid_290c4387ac7e03d9, 1

	.ident	"AMD clang version 19.0.0git (https://github.com/RadeonOpenCompute/llvm-project roc-6.4.0 25133 c7fe45cf4b819c5991fe208aaa96edf142730f1d)"
	.section	".note.GNU-stack","",@progbits
	.addrsig
	.addrsig_sym __hip_cuid_290c4387ac7e03d9
	.amdgpu_metadata
---
amdhsa.kernels:
  - .args:
      - .actual_access:  read_only
        .address_space:  global
        .offset:         0
        .size:           8
        .value_kind:     global_buffer
      - .actual_access:  read_only
        .address_space:  global
        .offset:         8
        .size:           8
        .value_kind:     global_buffer
      - .actual_access:  read_only
        .address_space:  global
        .offset:         16
        .size:           8
        .value_kind:     global_buffer
      - .actual_access:  read_only
        .address_space:  global
        .offset:         24
        .size:           8
        .value_kind:     global_buffer
      - .actual_access:  read_only
        .address_space:  global
        .offset:         32
        .size:           8
        .value_kind:     global_buffer
      - .offset:         40
        .size:           8
        .value_kind:     by_value
      - .address_space:  global
        .offset:         48
        .size:           8
        .value_kind:     global_buffer
      - .address_space:  global
        .offset:         56
        .size:           8
        .value_kind:     global_buffer
      - .address_space:  global
        .offset:         64
        .size:           8
        .value_kind:     global_buffer
      - .address_space:  global
        .offset:         72
        .size:           8
        .value_kind:     global_buffer
      - .offset:         80
        .size:           4
        .value_kind:     by_value
      - .address_space:  global
        .offset:         88
        .size:           8
        .value_kind:     global_buffer
      - .address_space:  global
        .offset:         96
        .size:           8
        .value_kind:     global_buffer
    .group_segment_fixed_size: 2744
    .kernarg_segment_align: 8
    .kernarg_segment_size: 104
    .language:       OpenCL C
    .language_version:
      - 2
      - 0
    .max_flat_workgroup_size: 49
    .name:           bluestein_single_fwd_len686_dim1_half_op_CI_CI
    .private_segment_fixed_size: 0
    .sgpr_count:     27
    .sgpr_spill_count: 0
    .symbol:         bluestein_single_fwd_len686_dim1_half_op_CI_CI.kd
    .uniform_work_group_size: 1
    .uses_dynamic_stack: false
    .vgpr_count:     79
    .vgpr_spill_count: 0
    .wavefront_size: 64
amdhsa.target:   amdgcn-amd-amdhsa--gfx906
amdhsa.version:
  - 1
  - 2
...

	.end_amdgpu_metadata
